;; amdgpu-corpus repo=ROCm/rocFFT kind=compiled arch=gfx1201 opt=O3
	.text
	.amdgcn_target "amdgcn-amd-amdhsa--gfx1201"
	.amdhsa_code_object_version 6
	.protected	bluestein_single_fwd_len1020_dim1_sp_op_CI_CI ; -- Begin function bluestein_single_fwd_len1020_dim1_sp_op_CI_CI
	.globl	bluestein_single_fwd_len1020_dim1_sp_op_CI_CI
	.p2align	8
	.type	bluestein_single_fwd_len1020_dim1_sp_op_CI_CI,@function
bluestein_single_fwd_len1020_dim1_sp_op_CI_CI: ; @bluestein_single_fwd_len1020_dim1_sp_op_CI_CI
; %bb.0:
	s_load_b128 s[8:11], s[0:1], 0x28
	v_mul_u32_u24_e32 v1, 0x3c4, v0
	s_mov_b32 s2, exec_lo
	s_delay_alu instid0(VALU_DEP_1) | instskip(NEXT) | instid1(VALU_DEP_1)
	v_lshrrev_b32_e32 v1, 16, v1
	v_mad_co_u64_u32 v[128:129], null, ttmp9, 3, v[1:2]
	v_mov_b32_e32 v129, 0
	s_wait_kmcnt 0x0
	s_delay_alu instid0(VALU_DEP_1)
	v_cmpx_gt_u64_e64 s[8:9], v[128:129]
	s_cbranch_execz .LBB0_31
; %bb.1:
	s_clause 0x1
	s_load_b128 s[4:7], s[0:1], 0x18
	s_load_b64 s[16:17], s[0:1], 0x0
	v_mul_lo_u16 v1, 0x44, v1
	s_movk_i32 s2, 0xfe46
	s_mov_b32 s3, -1
	s_delay_alu instid0(VALU_DEP_1) | instskip(NEXT) | instid1(VALU_DEP_1)
	v_sub_nc_u16 v38, v0, v1
	v_and_b32_e32 v166, 0xffff, v38
	s_wait_kmcnt 0x0
	s_load_b128 s[12:15], s[4:5], 0x0
	s_wait_kmcnt 0x0
	v_mad_co_u64_u32 v[0:1], null, s14, v128, 0
	v_mad_co_u64_u32 v[2:3], null, s12, v166, 0
	s_mul_u64 s[4:5], s[12:13], 0x1fe
	s_mul_u64 s[2:3], s[12:13], s[2:3]
	s_delay_alu instid0(SALU_CYCLE_1) | instskip(NEXT) | instid1(VALU_DEP_1)
	s_lshl_b64 s[2:3], s[2:3], 3
	v_mad_co_u64_u32 v[4:5], null, s15, v128, v[1:2]
	s_delay_alu instid0(VALU_DEP_1) | instskip(NEXT) | instid1(VALU_DEP_3)
	v_mov_b32_e32 v1, v4
	v_mad_co_u64_u32 v[5:6], null, s13, v166, v[3:4]
	v_lshlrev_b32_e32 v76, 3, v166
	s_delay_alu instid0(VALU_DEP_3) | instskip(NEXT) | instid1(VALU_DEP_3)
	v_lshlrev_b64_e32 v[0:1], 3, v[0:1]
	v_mov_b32_e32 v3, v5
	global_load_b64 v[139:140], v76, s[16:17] offset:4080
	v_add_co_u32 v0, vcc_lo, s10, v0
	v_add_co_ci_u32_e32 v1, vcc_lo, s11, v1, vcc_lo
	v_lshlrev_b64_e32 v[2:3], 3, v[2:3]
	s_lshl_b64 s[10:11], s[4:5], 3
	s_clause 0xa
	global_load_b64 v[141:142], v76, s[16:17]
	global_load_b64 v[137:138], v76, s[16:17] offset:544
	global_load_b64 v[126:127], v76, s[16:17] offset:1088
	;; [unrolled: 1-line block ×10, first 2 shown]
	v_add_co_u32 v0, vcc_lo, v0, v2
	s_wait_alu 0xfffd
	v_add_co_ci_u32_e32 v1, vcc_lo, v1, v3, vcc_lo
	v_add_co_u32 v112, s12, s16, v76
	s_wait_alu 0xfffe
	v_add_co_u32 v2, vcc_lo, v0, s10
	s_wait_alu 0xfffd
	v_add_co_ci_u32_e32 v3, vcc_lo, s11, v1, vcc_lo
	global_load_b64 v[6:7], v[0:1], off
	v_add_co_u32 v4, vcc_lo, v2, s2
	s_wait_alu 0xfffd
	v_add_co_ci_u32_e32 v5, vcc_lo, s3, v3, vcc_lo
	s_wait_alu 0xf1ff
	v_add_co_ci_u32_e64 v113, null, s17, 0, s12
	v_add_co_u32 v0, vcc_lo, v4, s10
	s_wait_alu 0xfffd
	v_add_co_ci_u32_e32 v1, vcc_lo, s11, v5, vcc_lo
	s_clause 0x2
	global_load_b64 v[2:3], v[2:3], off
	global_load_b64 v[10:11], v[4:5], off
	;; [unrolled: 1-line block ×3, first 2 shown]
	v_add_co_u32 v8, vcc_lo, v0, s2
	s_wait_alu 0xfffd
	v_add_co_ci_u32_e32 v9, vcc_lo, s3, v1, vcc_lo
	s_delay_alu instid0(VALU_DEP_2) | instskip(SKIP_1) | instid1(VALU_DEP_2)
	v_add_co_u32 v0, vcc_lo, v8, s10
	s_wait_alu 0xfffd
	v_add_co_ci_u32_e32 v1, vcc_lo, s11, v9, vcc_lo
	global_load_b64 v[8:9], v[8:9], off
	v_add_co_u32 v4, vcc_lo, v0, s2
	s_wait_alu 0xfffd
	v_add_co_ci_u32_e32 v5, vcc_lo, s3, v1, vcc_lo
	global_load_b64 v[14:15], v[0:1], off
	;; [unrolled: 4-line block ×7, first 2 shown]
	v_add_co_u32 v4, vcc_lo, v0, s2
	global_load_b64 v[26:27], v[0:1], off
	s_wait_alu 0xfffd
	v_add_co_ci_u32_e32 v5, vcc_lo, s3, v1, vcc_lo
	v_add_co_u32 v0, vcc_lo, v4, s10
	s_wait_alu 0xfffd
	s_delay_alu instid0(VALU_DEP_2)
	v_add_co_ci_u32_e32 v1, vcc_lo, s11, v5, vcc_lo
	global_load_b64 v[131:132], v76, s[16:17] offset:3264
	global_load_b64 v[28:29], v[4:5], off
	global_load_b64 v[133:134], v76, s[16:17] offset:7344
	global_load_b64 v[30:31], v[0:1], off
	v_mul_hi_u32 v4, 0xaaaaaaab, v128
	s_load_b64 s[8:9], s[0:1], 0x38
	s_load_b128 s[4:7], s[6:7], 0x0
	v_cmp_gt_u16_e32 vcc_lo, 34, v38
	s_delay_alu instid0(VALU_DEP_2) | instskip(NEXT) | instid1(VALU_DEP_1)
	v_lshrrev_b32_e32 v4, 1, v4
	v_lshl_add_u32 v4, v4, 1, v4
	s_delay_alu instid0(VALU_DEP_1) | instskip(NEXT) | instid1(VALU_DEP_1)
	v_sub_nc_u32_e32 v4, v128, v4
	v_mul_u32_u24_e32 v4, 0x3fc, v4
	s_wait_loadcnt 0xf
	s_delay_alu instid0(VALU_DEP_1) | instskip(NEXT) | instid1(VALU_DEP_1)
	v_dual_mul_f32 v32, v7, v142 :: v_dual_lshlrev_b32 v167, 3, v4
	v_add_nc_u32_e32 v165, v76, v167
	v_mul_f32_e32 v33, v6, v142
	s_delay_alu instid0(VALU_DEP_3) | instskip(NEXT) | instid1(VALU_DEP_3)
	v_fmac_f32_e32 v32, v6, v141
	v_add_nc_u32_e32 v4, 0x1400, v165
	v_add_nc_u32_e32 v5, 0x1000, v165
	s_delay_alu instid0(VALU_DEP_4)
	v_fma_f32 v33, v7, v141, -v33
	s_wait_loadcnt 0xe
	v_mul_f32_e32 v34, v3, v140
	v_mul_f32_e32 v6, v2, v140
	s_wait_loadcnt 0xd
	v_mul_f32_e32 v36, v11, v138
	v_mul_f32_e32 v37, v10, v138
	s_wait_loadcnt 0xb
	v_mul_f32_e32 v7, v9, v127
	v_fma_f32 v35, v3, v139, -v6
	v_dual_mul_f32 v3, v12, v136 :: v_dual_fmac_f32 v34, v2, v139
	v_fmac_f32_e32 v36, v10, v137
	v_mul_f32_e32 v2, v13, v136
	v_fma_f32 v37, v11, v137, -v37
	s_wait_loadcnt 0xa
	v_dual_mul_f32 v11, v14, v130 :: v_dual_add_nc_u32 v6, 0x800, v165
	v_mul_f32_e32 v10, v15, v130
	v_fma_f32 v3, v13, v135, -v3
	v_mul_f32_e32 v13, v8, v127
	v_fmac_f32_e32 v2, v12, v135
	s_wait_loadcnt 0x9
	v_mul_f32_e32 v12, v17, v115
	v_fma_f32 v11, v15, v129, -v11
	v_fmac_f32_e32 v7, v8, v126
	v_fma_f32 v8, v9, v126, -v13
	ds_store_b64 v165, v[34:35] offset:4080
	ds_store_2addr_b64 v165, v[32:33], v[36:37] offset1:68
	s_wait_loadcnt 0x7
	v_dual_fmac_f32 v12, v16, v114 :: v_dual_mul_f32 v9, v21, v125
	v_fmac_f32_e32 v10, v14, v129
	v_mul_f32_e32 v14, v16, v115
	s_delay_alu instid0(VALU_DEP_3)
	v_fmac_f32_e32 v9, v20, v124
	ds_store_2addr_b64 v5, v[2:3], v[10:11] offset0:66 offset1:134
	v_mul_f32_e32 v2, v19, v117
	v_mul_f32_e32 v3, v18, v117
	s_wait_loadcnt 0x5
	v_mul_f32_e32 v11, v24, v123
	s_wait_loadcnt 0x4
	v_mul_f32_e32 v15, v27, v121
	v_fma_f32 v13, v17, v114, -v14
	v_fma_f32 v3, v19, v116, -v3
	;; [unrolled: 1-line block ×3, first 2 shown]
	v_mul_f32_e32 v11, v26, v121
	v_fmac_f32_e32 v15, v26, v120
	ds_store_2addr_b64 v165, v[7:8], v[12:13] offset0:136 offset1:204
	s_wait_loadcnt 0x2
	v_mul_f32_e32 v12, v28, v132
	v_dual_mul_f32 v8, v20, v125 :: v_dual_mul_f32 v13, v25, v123
	v_dual_fmac_f32 v2, v18, v116 :: v_dual_mul_f32 v7, v23, v119
	s_wait_loadcnt 0x0
	v_dual_mul_f32 v17, v29, v132 :: v_dual_mul_f32 v20, v30, v134
	s_delay_alu instid0(VALU_DEP_3)
	v_fma_f32 v10, v21, v124, -v8
	v_dual_mul_f32 v8, v22, v119 :: v_dual_fmac_f32 v13, v24, v122
	v_mul_f32_e32 v19, v31, v134
	v_fmac_f32_e32 v7, v22, v118
	v_fma_f32 v18, v29, v131, -v12
	v_add_nc_u32_e32 v12, 0x1800, v165
	v_fma_f32 v8, v23, v118, -v8
	v_fmac_f32_e32 v17, v28, v131
	v_fma_f32 v16, v27, v120, -v11
	v_fmac_f32_e32 v19, v30, v133
	v_fma_f32 v20, v31, v133, -v20
	ds_store_2addr_b64 v4, v[2:3], v[7:8] offset0:74 offset1:142
	ds_store_2addr_b64 v6, v[9:10], v[13:14] offset0:16 offset1:84
	ds_store_b64 v165, v[17:18] offset:3264
	ds_store_2addr_b64 v12, v[15:16], v[19:20] offset0:82 offset1:150
	s_and_saveexec_b32 s12, vcc_lo
	s_cbranch_execz .LBB0_3
; %bb.2:
	v_add_co_u32 v0, s2, v0, s2
	s_wait_alu 0xf1ff
	v_add_co_ci_u32_e64 v1, s2, s3, v1, s2
	s_delay_alu instid0(VALU_DEP_2) | instskip(SKIP_1) | instid1(VALU_DEP_2)
	v_add_co_u32 v2, s2, v0, s10
	s_wait_alu 0xf1ff
	v_add_co_ci_u32_e64 v3, s2, s11, v1, s2
	global_load_b64 v[0:1], v[0:1], off
	s_clause 0x1
	global_load_b64 v[7:8], v[112:113], off offset:3808
	global_load_b64 v[9:10], v[112:113], off offset:7888
	global_load_b64 v[2:3], v[2:3], off
	s_wait_loadcnt 0x2
	v_mul_f32_e32 v13, v1, v8
	s_wait_loadcnt 0x0
	v_dual_mul_f32 v11, v0, v8 :: v_dual_mul_f32 v8, v3, v10
	s_delay_alu instid0(VALU_DEP_2) | instskip(NEXT) | instid1(VALU_DEP_2)
	v_dual_mul_f32 v10, v2, v10 :: v_dual_fmac_f32 v13, v0, v7
	v_fma_f32 v14, v1, v7, -v11
	s_delay_alu instid0(VALU_DEP_3) | instskip(NEXT) | instid1(VALU_DEP_3)
	v_fmac_f32_e32 v8, v2, v9
	v_fma_f32 v9, v3, v9, -v10
	ds_store_b64 v165, v[13:14] offset:3808
	ds_store_b64 v165, v[8:9] offset:7888
.LBB0_3:
	s_wait_alu 0xfffe
	s_or_b32 exec_lo, exec_lo, s12
	global_wb scope:SCOPE_SE
	s_wait_dscnt 0x0
	s_wait_kmcnt 0x0
	s_barrier_signal -1
	s_barrier_wait -1
	global_inv scope:SCOPE_SE
	ds_load_2addr_b64 v[16:19], v165 offset1:68
	ds_load_2addr_b64 v[0:3], v6 offset0:152 offset1:254
	ds_load_2addr_b64 v[24:27], v5 offset0:66 offset1:134
	;; [unrolled: 1-line block ×6, first 2 shown]
                                        ; implicit-def: $vgpr30
                                        ; implicit-def: $vgpr28
	s_and_saveexec_b32 s2, vcc_lo
	s_cbranch_execz .LBB0_5
; %bb.4:
	ds_load_b64 v[28:29], v165 offset:3808
	ds_load_b64 v[30:31], v165 offset:7888
.LBB0_5:
	s_wait_alu 0xfffe
	s_or_b32 exec_lo, exec_lo, s2
	s_load_b64 s[2:3], s[0:1], 0x8
	v_add_co_u32 v68, s0, 0x44, v166
	s_wait_alu 0xf1ff
	v_add_co_ci_u32_e64 v32, null, 0, 0, s0
	v_add_co_u32 v69, s0, 0x154, v166
	v_add_co_u32 v72, null, 0x88, v166
	v_add_co_u32 v66, null, 0xcc, v166
	;; [unrolled: 1-line block ×3, first 2 shown]
	s_wait_alu 0xf1ff
	v_add_co_ci_u32_e64 v32, null, 0, 0, s0
	s_wait_dscnt 0x5
	v_dual_sub_f32 v34, v16, v2 :: v_dual_sub_f32 v35, v17, v3
	v_add_co_u32 v71, s0, 0x198, v166
	v_add_co_u32 v70, null, 0x1dc, v166
	s_wait_dscnt 0x4
	v_dual_sub_f32 v38, v18, v24 :: v_dual_sub_f32 v39, v19, v25
	s_wait_dscnt 0x3
	v_dual_sub_f32 v42, v8, v26 :: v_dual_sub_f32 v43, v9, v27
	;; [unrolled: 2-line block ×5, first 2 shown]
	v_dual_sub_f32 v62, v0, v14 :: v_dual_sub_f32 v63, v1, v15
	v_dual_sub_f32 v58, v28, v30 :: v_dual_sub_f32 v59, v29, v31
	v_fma_f32 v32, v16, 2.0, -v34
	v_fma_f32 v33, v17, 2.0, -v35
	;; [unrolled: 1-line block ×16, first 2 shown]
	v_lshl_add_u32 v169, v166, 4, v167
	v_lshl_add_u32 v170, v68, 4, v167
	;; [unrolled: 1-line block ×8, first 2 shown]
	s_wait_alu 0xf1ff
	v_add_co_ci_u32_e64 v2, null, 0, 0, s0
	global_wb scope:SCOPE_SE
	s_wait_kmcnt 0x0
	s_barrier_signal -1
	s_barrier_wait -1
	global_inv scope:SCOPE_SE
	ds_store_b128 v169, v[32:35]
	ds_store_b128 v170, v[36:39]
	;; [unrolled: 1-line block ×7, first 2 shown]
	s_and_saveexec_b32 s0, vcc_lo
	s_cbranch_execz .LBB0_7
; %bb.6:
	ds_store_b128 v172, v[56:59]
.LBB0_7:
	s_wait_alu 0xfffe
	s_or_b32 exec_lo, exec_lo, s0
	v_cmp_gt_u16_e64 s0, 60, v166
	global_wb scope:SCOPE_SE
	s_wait_dscnt 0x0
	s_barrier_signal -1
	s_barrier_wait -1
	global_inv scope:SCOPE_SE
                                        ; implicit-def: $vgpr64
	s_and_saveexec_b32 s1, s0
	s_cbranch_execz .LBB0_9
; %bb.8:
	v_add_nc_u32_e32 v0, 0x400, v165
	v_add_nc_u32_e32 v1, 0x800, v165
	v_add_nc_u32_e32 v2, 0xc00, v165
	ds_load_2addr_b64 v[32:35], v165 offset1:60
	ds_load_2addr_b64 v[36:39], v165 offset0:120 offset1:180
	v_add_nc_u32_e32 v3, 0x1400, v165
	ds_load_2addr_b64 v[40:43], v0 offset0:112 offset1:172
	v_add_nc_u32_e32 v0, 0x1000, v165
	v_add_nc_u32_e32 v4, 0x1800, v165
	ds_load_2addr_b64 v[44:47], v1 offset0:104 offset1:164
	ds_load_2addr_b64 v[48:51], v2 offset0:96 offset1:156
	;; [unrolled: 1-line block ×5, first 2 shown]
	ds_load_b64 v[64:65], v165 offset:7680
.LBB0_9:
	s_wait_alu 0xfffe
	s_or_b32 exec_lo, exec_lo, s1
	v_and_b32_e32 v168, 1, v166
	s_delay_alu instid0(VALU_DEP_1)
	v_lshlrev_b32_e32 v0, 7, v168
	s_clause 0x7
	global_load_b128 v[28:31], v0, s[2:3]
	global_load_b128 v[20:23], v0, s[2:3] offset:16
	global_load_b128 v[16:19], v0, s[2:3] offset:32
	;; [unrolled: 1-line block ×7, first 2 shown]
	global_wb scope:SCOPE_SE
	s_wait_loadcnt_dscnt 0x0
	s_barrier_signal -1
	s_barrier_wait -1
	global_inv scope:SCOPE_SE
	v_mul_f32_e32 v73, v35, v29
	v_mul_f32_e32 v75, v39, v21
	v_dual_mul_f32 v164, v34, v29 :: v_dual_mul_f32 v77, v41, v23
	v_dual_mul_f32 v74, v37, v31 :: v_dual_mul_f32 v103, v38, v21
	;; [unrolled: 1-line block ×10, first 2 shown]
	v_dual_mul_f32 v147, v64, v3 :: v_dual_fmac_f32 v164, v35, v28
	v_fma_f32 v178, v34, v28, -v73
	v_fma_f32 v148, v64, v2, -v89
	v_dual_mul_f32 v102, v36, v31 :: v_dual_mul_f32 v105, v42, v17
	v_dual_mul_f32 v144, v62, v5 :: v_dual_mul_f32 v87, v57, v7
	v_fma_f32 v149, v36, v30, -v74
	v_fma_f32 v153, v44, v18, -v79
	v_dual_fmac_f32 v106, v45, v18 :: v_dual_fmac_f32 v109, v51, v24
	v_fma_f32 v154, v46, v8, -v80
	v_dual_fmac_f32 v108, v49, v10 :: v_dual_fmac_f32 v111, v55, v12
	v_fma_f32 v157, v52, v26, -v83
	v_fma_f32 v158, v54, v12, -v84
	v_dual_fmac_f32 v147, v65, v2 :: v_dual_fmac_f32 v146, v59, v0
	v_dual_fmac_f32 v145, v57, v6 :: v_dual_sub_f32 v196, v178, v148
	v_fma_f32 v177, v58, v0, -v88
	v_dual_mul_f32 v110, v52, v27 :: v_dual_fmac_f32 v103, v39, v20
	v_dual_mul_f32 v143, v60, v15 :: v_dual_mul_f32 v86, v63, v5
	v_dual_fmac_f32 v102, v37, v30 :: v_dual_fmac_f32 v105, v43, v16
	v_fma_f32 v150, v38, v20, -v75
	v_fma_f32 v151, v40, v22, -v77
	;; [unrolled: 1-line block ×4, first 2 shown]
	v_dual_add_f32 v181, v164, v147 :: v_dual_add_f32 v34, v149, v177
	v_dual_sub_f32 v180, v164, v147 :: v_dual_add_f32 v35, v102, v146
	v_sub_f32_e32 v49, v149, v177
	v_dual_add_f32 v42, v153, v158 :: v_dual_sub_f32 v77, v106, v111
	v_dual_sub_f32 v83, v153, v158 :: v_dual_add_f32 v44, v154, v157
	v_mul_f32_e32 v198, 0xbeb8f4ab, v196
	v_dual_mul_f32 v104, v40, v23 :: v_dual_mul_f32 v107, v46, v9
	v_fma_f32 v155, v48, v10, -v81
	v_fma_f32 v156, v50, v24, -v82
	v_dual_fmac_f32 v110, v53, v26 :: v_dual_add_f32 v179, v178, v148
	v_dual_fmac_f32 v143, v61, v14 :: v_dual_fmac_f32 v144, v63, v4
	v_fma_f32 v162, v62, v4, -v86
	v_sub_f32_e32 v48, v102, v146
	v_dual_sub_f32 v51, v150, v163 :: v_dual_sub_f32 v50, v103, v145
	v_dual_mul_f32 v197, 0xbeb8f4ab, v180 :: v_dual_mul_f32 v90, 0xbeb8f4ab, v77
	v_dual_mul_f32 v200, 0xbf2c7751, v196 :: v_dual_mul_f32 v189, 0xbf2c7751, v49
	s_delay_alu instid0(VALU_DEP_3)
	v_dual_mul_f32 v202, 0xbf65296c, v196 :: v_dual_mul_f32 v183, 0xbf65296c, v50
	v_mul_f32_e32 v99, 0xbeb8f4ab, v83
	v_fma_f32 v61, 0x3f6eb680, v181, -v198
	v_dual_fmac_f32 v104, v41, v22 :: v_dual_fmac_f32 v107, v47, v8
	v_fma_f32 v161, v60, v14, -v85
	v_dual_add_f32 v36, v150, v163 :: v_dual_add_f32 v37, v103, v145
	s_delay_alu instid0(VALU_DEP_3)
	v_dual_sub_f32 v53, v151, v162 :: v_dual_sub_f32 v52, v104, v144
	v_dual_mul_f32 v182, 0xbf2c7751, v48 :: v_dual_add_f32 v61, v33, v61
	v_dual_mul_f32 v94, 0xbf4c4adb, v49 :: v_dual_mul_f32 v195, 0xbf4c4adb, v83
	v_dual_fmamk_f32 v60, v179, 0x3f6eb680, v197 :: v_dual_fmamk_f32 v231, v42, 0x3f6eb680, v90
	v_mul_f32_e32 v191, 0xbf65296c, v51
	v_fma_f32 v160, 0x3ee437d1, v181, -v202
	v_fma_f32 v204, 0x3f3d2fb0, v35, -v189
	s_delay_alu instid0(VALU_DEP_4)
	v_add_f32_e32 v60, v32, v60
	v_dual_add_f32 v38, v151, v162 :: v_dual_add_f32 v39, v104, v144
	v_dual_sub_f32 v64, v152, v161 :: v_dual_add_f32 v43, v106, v111
	v_dual_sub_f32 v54, v105, v143 :: v_dual_add_f32 v45, v107, v110
	v_dual_sub_f32 v91, v155, v156 :: v_dual_sub_f32 v92, v108, v109
	v_dual_mul_f32 v87, 0x3e3c28d5, v50 :: v_dual_add_f32 v160, v33, v160
	v_dual_mul_f32 v82, 0x3f763a35, v83 :: v_dual_add_f32 v61, v204, v61
	v_fma_f32 v208, 0xbf1a4643, v35, -v94
	v_mul_f32_e32 v193, 0xbf7ee86f, v53
	v_fma_f32 v210, 0x3ee437d1, v37, -v191
	v_dual_add_f32 v40, v152, v161 :: v_dual_add_f32 v41, v105, v143
	v_dual_mul_f32 v185, 0xbf763a35, v54 :: v_dual_mul_f32 v194, 0xbf763a35, v64
	s_delay_alu instid0(VALU_DEP_3)
	v_dual_mul_f32 v190, 0xbe3c28d5, v91 :: v_dual_add_f32 v61, v210, v61
	v_add_f32_e32 v160, v208, v160
	v_fma_f32 v216, 0x3dbcf732, v39, -v193
	v_dual_sub_f32 v85, v154, v157 :: v_dual_sub_f32 v84, v107, v110
	v_mul_f32_e32 v199, 0xbf2c7751, v180
	v_fma_f32 v222, 0xbe8c1d8e, v41, -v194
	s_delay_alu instid0(VALU_DEP_4)
	v_add_f32_e32 v61, v216, v61
	v_dual_mul_f32 v73, 0xbf7ee86f, v49 :: v_dual_mul_f32 v184, 0xbf7ee86f, v52
	v_dual_mul_f32 v187, 0xbf06c442, v84 :: v_dual_mul_f32 v192, 0xbf06c442, v85
	v_dual_fmamk_f32 v62, v179, 0x3f3d2fb0, v199 :: v_dual_fmamk_f32 v203, v34, 0x3f3d2fb0, v182
	v_fma_f32 v63, 0x3f3d2fb0, v181, -v200
	v_fma_f32 v228, 0xbf1a4643, v43, -v195
	v_dual_add_f32 v61, v222, v61 :: v_dual_add_f32 v46, v155, v156
	v_dual_add_f32 v47, v108, v109 :: v_dual_mul_f32 v56, 0xbf4c4adb, v50
	s_delay_alu instid0(VALU_DEP_4)
	v_add_f32_e32 v63, v33, v63
	v_dual_mul_f32 v95, 0x3e3c28d5, v51 :: v_dual_add_f32 v60, v203, v60
	v_fma_f32 v206, 0x3dbcf732, v35, -v73
	v_mul_f32_e32 v186, 0xbf4c4adb, v77
	v_fmamk_f32 v233, v44, 0xbf59a7d5, v187
	v_fmamk_f32 v221, v40, 0xbe8c1d8e, v185
	;; [unrolled: 1-line block ×3, first 2 shown]
	v_fma_f32 v234, 0xbf59a7d5, v45, -v192
	v_add_f32_e32 v61, v228, v61
	v_dual_mul_f32 v55, 0xbf7ee86f, v48 :: v_dual_mul_f32 v96, 0xbf7ee86f, v85
	s_delay_alu instid0(VALU_DEP_4)
	v_dual_mul_f32 v101, 0xbf06c442, v91 :: v_dual_add_f32 v60, v209, v60
	v_fma_f32 v240, 0xbf7ba420, v47, -v190
	v_add_f32_e32 v63, v206, v63
	v_add_f32_e32 v61, v234, v61
	v_fmamk_f32 v227, v42, 0xbf1a4643, v186
	v_fmamk_f32 v215, v38, 0x3dbcf732, v184
	;; [unrolled: 1-line block ×3, first 2 shown]
	v_fma_f32 v214, 0xbf7ba420, v37, -v95
	v_add_f32_e32 v62, v32, v62
	v_dual_mul_f32 v86, 0xbf4c4adb, v48 :: v_dual_mul_f32 v75, 0xbf4c4adb, v51
	v_add_f32_e32 v60, v215, v60
	s_delay_alu instid0(VALU_DEP_3) | instskip(SKIP_2) | instid1(VALU_DEP_3)
	v_dual_mul_f32 v201, 0xbf65296c, v180 :: v_dual_add_f32 v62, v205, v62
	v_add_f32_e32 v160, v214, v160
	v_dual_mul_f32 v58, 0x3f06c442, v54 :: v_dual_mul_f32 v81, 0x3f06c442, v64
	v_fmamk_f32 v159, v179, 0x3ee437d1, v201
	v_mul_f32_e32 v98, 0x3f763a35, v53
	v_dual_mul_f32 v89, 0x3f2c7751, v54 :: v_dual_mul_f32 v100, 0x3f2c7751, v64
	v_dual_mul_f32 v65, 0x3f65296c, v84 :: v_dual_mul_f32 v78, 0x3f65296c, v85
	s_delay_alu instid0(VALU_DEP_4) | instskip(NEXT) | instid1(VALU_DEP_4)
	v_add_f32_e32 v159, v32, v159
	v_fma_f32 v220, 0xbe8c1d8e, v39, -v98
	v_fmamk_f32 v207, v34, 0xbf1a4643, v86
	v_dual_mul_f32 v57, 0xbe3c28d5, v52 :: v_dual_mul_f32 v80, 0xbe3c28d5, v53
	v_dual_mul_f32 v88, 0x3f763a35, v52 :: v_dual_mul_f32 v59, 0x3f763a35, v77
	;; [unrolled: 1-line block ×3, first 2 shown]
	v_fma_f32 v212, 0xbf1a4643, v37, -v75
	v_fma_f32 v226, 0x3f3d2fb0, v41, -v100
	v_fmamk_f32 v235, v44, 0x3ee437d1, v65
	v_fmamk_f32 v223, v40, 0xbf59a7d5, v58
	;; [unrolled: 1-line block ×3, first 2 shown]
	v_add_f32_e32 v160, v220, v160
	v_dual_mul_f32 v188, 0xbe3c28d5, v92 :: v_dual_add_f32 v159, v207, v159
	v_fmamk_f32 v213, v36, 0xbf7ba420, v87
	s_delay_alu instid0(VALU_DEP_4)
	v_dual_mul_f32 v93, 0xbf7ee86f, v84 :: v_dual_add_f32 v62, v211, v62
	v_fma_f32 v218, 0xbf7ba420, v39, -v80
	v_fma_f32 v232, 0x3f6eb680, v43, -v99
	v_fmamk_f32 v241, v46, 0x3f6eb680, v74
	v_fmamk_f32 v229, v42, 0xbe8c1d8e, v59
	;; [unrolled: 1-line block ×3, first 2 shown]
	v_dual_add_f32 v63, v212, v63 :: v_dual_add_f32 v160, v226, v160
	v_fmamk_f32 v219, v38, 0xbe8c1d8e, v88
	v_add_f32_e32 v159, v213, v159
	s_delay_alu instid0(VALU_DEP_4)
	v_dual_mul_f32 v97, 0xbf06c442, v92 :: v_dual_add_f32 v62, v217, v62
	v_fma_f32 v224, 0xbf59a7d5, v41, -v81
	v_fma_f32 v238, 0x3dbcf732, v45, -v96
	v_dual_add_f32 v63, v218, v63 :: v_dual_add_f32 v160, v232, v160
	v_fmamk_f32 v225, v40, 0x3f3d2fb0, v89
	v_add_f32_e32 v159, v219, v159
	v_fma_f32 v230, 0xbe8c1d8e, v43, -v82
	v_add_f32_e32 v60, v221, v60
	v_add_f32_e32 v204, v238, v160
	v_dual_add_f32 v62, v223, v62 :: v_dual_add_f32 v63, v224, v63
	v_add_f32_e32 v159, v225, v159
	v_fma_f32 v236, 0x3ee437d1, v45, -v78
	s_delay_alu instid0(VALU_DEP_3) | instskip(NEXT) | instid1(VALU_DEP_4)
	v_dual_fmamk_f32 v237, v44, 0x3dbcf732, v93 :: v_dual_add_f32 v62, v229, v62
	v_add_f32_e32 v63, v230, v63
	s_delay_alu instid0(VALU_DEP_4) | instskip(SKIP_4) | instid1(VALU_DEP_4)
	v_dual_add_f32 v159, v231, v159 :: v_dual_add_f32 v160, v240, v61
	v_dual_add_f32 v60, v227, v60 :: v_dual_fmamk_f32 v239, v46, 0xbf7ba420, v188
	v_fma_f32 v242, 0x3f6eb680, v47, -v79
	v_fmamk_f32 v243, v46, 0xbf59a7d5, v97
	v_fma_f32 v244, 0xbf59a7d5, v47, -v101
	v_add_f32_e32 v60, v233, v60
	v_dual_add_f32 v62, v235, v62 :: v_dual_add_f32 v63, v236, v63
	v_add_f32_e32 v203, v237, v159
	s_delay_alu instid0(VALU_DEP_4) | instskip(NEXT) | instid1(VALU_DEP_3)
	v_add_f32_e32 v61, v244, v204
	v_dual_add_f32 v159, v239, v60 :: v_dual_add_f32 v62, v241, v62
	s_delay_alu instid0(VALU_DEP_4) | instskip(NEXT) | instid1(VALU_DEP_4)
	v_add_f32_e32 v63, v242, v63
	v_add_f32_e32 v60, v243, v203
	s_and_saveexec_b32 s1, s0
	s_cbranch_execz .LBB0_11
; %bb.10:
	v_mul_f32_e32 v207, 0xbe3c28d5, v196
	v_mul_f32_e32 v213, 0xbf763a35, v180
	;; [unrolled: 1-line block ×5, first 2 shown]
	v_fmamk_f32 v209, v181, 0xbf7ba420, v207
	v_fmamk_f32 v214, v179, 0xbe8c1d8e, v213
	;; [unrolled: 1-line block ×3, first 2 shown]
	v_fma_f32 v217, 0xbf7ba420, v179, -v215
	s_delay_alu instid0(VALU_DEP_4) | instskip(NEXT) | instid1(VALU_DEP_3)
	v_dual_mul_f32 v208, 0xbf4c4adb, v196 :: v_dual_add_f32 v209, v33, v209
	v_dual_mul_f32 v203, 0x3ee437d1, v181 :: v_dual_add_f32 v206, v33, v206
	v_fma_f32 v213, 0xbe8c1d8e, v179, -v213
	s_delay_alu instid0(VALU_DEP_4) | instskip(SKIP_1) | instid1(VALU_DEP_4)
	v_add_f32_e32 v217, v32, v217
	v_add_f32_e32 v214, v32, v214
	;; [unrolled: 1-line block ×3, first 2 shown]
	v_mul_f32_e32 v203, 0x3ee437d1, v179
	v_dual_fmamk_f32 v210, v181, 0xbf1a4643, v208 :: v_dual_add_f32 v213, v32, v213
	v_fma_f32 v218, 0xbf1a4643, v179, -v216
	v_fmac_f32_e32 v205, 0xbf763a35, v196
	s_delay_alu instid0(VALU_DEP_4)
	v_sub_f32_e32 v201, v203, v201
	v_mul_f32_e32 v203, 0x3f3d2fb0, v181
	v_fma_f32 v208, 0xbf1a4643, v181, -v208
	v_fmac_f32_e32 v216, 0xbf1a4643, v179
	v_add_f32_e32 v218, v32, v218
	v_add_f32_e32 v201, v32, v201
	;; [unrolled: 1-line block ×3, first 2 shown]
	v_dual_mul_f32 v203, 0x3f3d2fb0, v179 :: v_dual_add_f32 v202, v33, v202
	v_fma_f32 v207, 0xbf7ba420, v181, -v207
	v_add_f32_e32 v210, v33, v210
	s_delay_alu instid0(VALU_DEP_3) | instskip(SKIP_3) | instid1(VALU_DEP_3)
	v_dual_add_f32 v220, v33, v164 :: v_dual_sub_f32 v199, v203, v199
	v_mul_f32_e32 v203, 0x3f6eb680, v181
	v_dual_fmac_f32 v215, 0xbf7ba420, v179 :: v_dual_add_f32 v200, v33, v200
	v_dual_add_f32 v205, v33, v205 :: v_dual_add_f32 v164, v32, v216
	v_add_f32_e32 v198, v198, v203
	v_mul_f32_e32 v203, 0x3f6eb680, v179
	s_delay_alu instid0(VALU_DEP_4) | instskip(NEXT) | instid1(VALU_DEP_2)
	v_add_f32_e32 v215, v32, v215
	v_sub_f32_e32 v197, v203, v197
	v_mul_f32_e32 v203, 0xbf59a7d5, v181
	s_delay_alu instid0(VALU_DEP_2) | instskip(NEXT) | instid1(VALU_DEP_2)
	v_add_f32_e32 v197, v32, v197
	v_fmamk_f32 v204, v196, 0x3f06c442, v203
	v_fmac_f32_e32 v203, 0xbf06c442, v196
	v_dual_mul_f32 v196, 0xbf7ee86f, v196 :: v_dual_add_f32 v199, v32, v199
	s_delay_alu instid0(VALU_DEP_3) | instskip(NEXT) | instid1(VALU_DEP_3)
	v_add_f32_e32 v204, v33, v204
	v_add_f32_e32 v203, v33, v203
	s_delay_alu instid0(VALU_DEP_3) | instskip(SKIP_2) | instid1(VALU_DEP_3)
	v_fmamk_f32 v211, v181, 0x3dbcf732, v196
	v_fma_f32 v181, 0x3dbcf732, v181, -v196
	v_mul_f32_e32 v196, 0xbf06c442, v180
	v_dual_mul_f32 v180, 0xbf7ee86f, v180 :: v_dual_add_f32 v211, v33, v211
	s_delay_alu instid0(VALU_DEP_2) | instskip(NEXT) | instid1(VALU_DEP_2)
	v_fmamk_f32 v212, v179, 0xbf59a7d5, v196
	v_fma_f32 v219, 0x3dbcf732, v179, -v180
	v_fma_f32 v196, 0xbf59a7d5, v179, -v196
	s_delay_alu instid0(VALU_DEP_3) | instskip(NEXT) | instid1(VALU_DEP_3)
	v_add_f32_e32 v212, v32, v212
	v_add_f32_e32 v219, v32, v219
	v_dual_fmac_f32 v180, 0x3dbcf732, v179 :: v_dual_add_f32 v179, v33, v198
	s_delay_alu instid0(VALU_DEP_4) | instskip(SKIP_1) | instid1(VALU_DEP_3)
	v_add_f32_e32 v196, v32, v196
	v_dual_add_f32 v198, v32, v178 :: v_dual_add_f32 v207, v33, v207
	v_add_f32_e32 v32, v32, v180
	v_add_f32_e32 v178, v33, v208
	v_dual_add_f32 v33, v33, v181 :: v_dual_mul_f32 v180, 0x3f3d2fb0, v35
	s_delay_alu instid0(VALU_DEP_4) | instskip(SKIP_2) | instid1(VALU_DEP_4)
	v_dual_add_f32 v102, v220, v102 :: v_dual_add_f32 v149, v198, v149
	v_mul_f32_e32 v181, 0x3f3d2fb0, v34
	v_mul_f32_e32 v198, 0x3f7ee86f, v91
	v_add_f32_e32 v180, v189, v180
	s_delay_alu instid0(VALU_DEP_4) | instskip(NEXT) | instid1(VALU_DEP_4)
	v_dual_add_f32 v102, v102, v103 :: v_dual_add_f32 v103, v149, v150
	v_dual_sub_f32 v181, v181, v182 :: v_dual_mul_f32 v150, 0x3f6eb680, v45
	s_delay_alu instid0(VALU_DEP_3) | instskip(NEXT) | instid1(VALU_DEP_3)
	v_dual_add_f32 v179, v180, v179 :: v_dual_mul_f32 v180, 0x3ee437d1, v37
	v_dual_add_f32 v102, v102, v104 :: v_dual_add_f32 v103, v103, v151
	v_mul_f32_e32 v151, 0x3f2c7751, v50
	s_delay_alu instid0(VALU_DEP_3) | instskip(NEXT) | instid1(VALU_DEP_3)
	v_dual_add_f32 v181, v181, v197 :: v_dual_add_f32 v180, v191, v180
	v_dual_add_f32 v102, v102, v105 :: v_dual_add_f32 v103, v103, v152
	v_mul_f32_e32 v152, 0xbf65296c, v52
	v_mul_f32_e32 v189, 0x3eb8f4ab, v48
	s_delay_alu instid0(VALU_DEP_4) | instskip(SKIP_4) | instid1(VALU_DEP_4)
	v_add_f32_e32 v179, v180, v179
	v_mul_f32_e32 v180, 0x3dbcf732, v39
	v_dual_add_f32 v102, v102, v106 :: v_dual_add_f32 v103, v103, v153
	v_mul_f32_e32 v153, 0xbe3c28d5, v54
	v_mul_f32_e32 v149, 0x3f06c442, v48
	v_add_f32_e32 v180, v193, v180
	s_delay_alu instid0(VALU_DEP_4) | instskip(NEXT) | instid1(VALU_DEP_2)
	v_dual_add_f32 v102, v102, v107 :: v_dual_add_f32 v103, v103, v154
	v_dual_add_f32 v179, v180, v179 :: v_dual_mul_f32 v180, 0xbe8c1d8e, v41
	s_delay_alu instid0(VALU_DEP_2) | instskip(SKIP_1) | instid1(VALU_DEP_3)
	v_dual_add_f32 v102, v102, v108 :: v_dual_add_f32 v103, v103, v155
	v_mul_f32_e32 v155, 0xbeb8f4ab, v84
	v_add_f32_e32 v180, v194, v180
	v_mul_f32_e32 v182, 0x3ee437d1, v36
	s_delay_alu instid0(VALU_DEP_4) | instskip(SKIP_1) | instid1(VALU_DEP_4)
	v_dual_add_f32 v102, v102, v109 :: v_dual_add_f32 v103, v103, v156
	v_mul_f32_e32 v109, 0x3dbcf732, v37
	v_add_f32_e32 v179, v180, v179
	s_delay_alu instid0(VALU_DEP_4) | instskip(SKIP_2) | instid1(VALU_DEP_3)
	v_sub_f32_e32 v182, v182, v183
	v_mul_f32_e32 v180, 0xbf1a4643, v43
	v_dual_add_f32 v102, v102, v110 :: v_dual_add_f32 v103, v103, v157
	v_dual_mul_f32 v156, 0xbf1a4643, v47 :: v_dual_add_f32 v181, v182, v181
	s_delay_alu instid0(VALU_DEP_3) | instskip(SKIP_1) | instid1(VALU_DEP_4)
	v_add_f32_e32 v180, v195, v180
	v_mul_f32_e32 v182, 0x3dbcf732, v38
	v_dual_add_f32 v102, v102, v111 :: v_dual_add_f32 v103, v103, v158
	v_mul_f32_e32 v111, 0x3f6eb680, v41
	s_delay_alu instid0(VALU_DEP_3) | instskip(NEXT) | instid1(VALU_DEP_3)
	v_dual_add_f32 v179, v180, v179 :: v_dual_sub_f32 v182, v182, v184
	v_dual_add_f32 v102, v102, v143 :: v_dual_add_f32 v103, v103, v161
	v_mul_f32_e32 v143, 0xbf59a7d5, v35
	s_delay_alu instid0(VALU_DEP_3) | instskip(SKIP_4) | instid1(VALU_DEP_3)
	v_dual_mul_f32 v157, 0xbf4c4adb, v92 :: v_dual_add_f32 v180, v182, v181
	v_mul_f32_e32 v182, 0xbf59a7d5, v45
	v_mul_f32_e32 v181, 0xbe8c1d8e, v40
	v_dual_add_f32 v102, v102, v144 :: v_dual_add_f32 v103, v103, v162
	v_mul_f32_e32 v144, 0x3f3d2fb0, v37
	v_dual_add_f32 v182, v192, v182 :: v_dual_sub_f32 v181, v181, v185
	s_delay_alu instid0(VALU_DEP_3) | instskip(SKIP_1) | instid1(VALU_DEP_3)
	v_dual_add_f32 v102, v102, v145 :: v_dual_add_f32 v103, v103, v163
	v_mul_f32_e32 v185, 0xbf06c442, v51
	v_dual_add_f32 v179, v182, v179 :: v_dual_add_f32 v180, v181, v180
	v_mul_f32_e32 v181, 0xbf1a4643, v42
	s_delay_alu instid0(VALU_DEP_4) | instskip(SKIP_2) | instid1(VALU_DEP_4)
	v_add_f32_e32 v102, v102, v146
	v_add_f32_e32 v104, v103, v177
	v_mul_f32_e32 v146, 0x3ee437d1, v39
	v_dual_mul_f32 v158, 0xbf7ba420, v43 :: v_dual_sub_f32 v181, v181, v186
	s_delay_alu instid0(VALU_DEP_3) | instskip(SKIP_1) | instid1(VALU_DEP_3)
	v_dual_add_f32 v103, v102, v147 :: v_dual_add_f32 v102, v104, v148
	v_lshrrev_b32_e32 v104, 1, v166
	v_dual_mul_f32 v147, 0xbf7ba420, v41 :: v_dual_add_f32 v180, v181, v180
	v_mul_f32_e32 v182, 0xbf7ba420, v47
	v_mul_f32_e32 v181, 0xbf59a7d5, v44
	s_delay_alu instid0(VALU_DEP_4) | instskip(SKIP_2) | instid1(VALU_DEP_4)
	v_mul_u32_u24_e32 v104, 34, v104
	v_mul_f32_e32 v148, 0x3dbcf732, v43
	v_mul_f32_e32 v186, 0x3f2c7751, v53
	v_dual_add_f32 v182, v190, v182 :: v_dual_sub_f32 v181, v181, v187
	s_delay_alu instid0(VALU_DEP_4)
	v_or_b32_e32 v104, v104, v168
	v_mul_f32_e32 v190, 0xbf763a35, v85
	v_mul_f32_e32 v162, 0x3f3d2fb0, v45
	;; [unrolled: 1-line block ×3, first 2 shown]
	v_dual_add_f32 v181, v181, v180 :: v_dual_mul_f32 v180, 0xbf7ba420, v46
	v_lshl_add_u32 v145, v104, 3, v167
	v_fmamk_f32 v104, v85, 0x3eb8f4ab, v150
	v_fmamk_f32 v191, v45, 0xbe8c1d8e, v190
	v_fmamk_f32 v107, v37, 0xbf59a7d5, v185
	v_dual_sub_f32 v183, v180, v188 :: v_dual_add_f32 v180, v182, v179
	v_mul_f32_e32 v161, 0x3f65296c, v48
	v_mul_f32_e32 v108, 0x3ee437d1, v35
	s_delay_alu instid0(VALU_DEP_3)
	v_dual_mul_f32 v182, 0xbe8c1d8e, v47 :: v_dual_add_f32 v179, v183, v181
	v_mul_f32_e32 v181, 0x3f2c7751, v84
	v_mul_f32_e32 v110, 0xbf1a4643, v39
	v_fmamk_f32 v106, v85, 0xbf2c7751, v162
	v_fmamk_f32 v105, v51, 0x3f7ee86f, v109
	ds_store_2addr_b64 v145, v[102:103], v[179:180] offset1:2
	v_fmamk_f32 v102, v49, 0xbf06c442, v143
	v_fmamk_f32 v103, v51, 0xbf2c7751, v144
	v_mul_f32_e32 v177, 0x3f4c4adb, v52
	v_mul_f32_e32 v180, 0xbe3c28d5, v77
	s_delay_alu instid0(VALU_DEP_4)
	v_dual_fmac_f32 v109, 0xbf7ee86f, v51 :: v_dual_add_f32 v102, v102, v206
	v_mul_f32_e32 v183, 0xbf763a35, v92
	v_mul_f32_e32 v184, 0x3eb8f4ab, v49
	v_fmac_f32_e32 v143, 0x3f06c442, v49
	v_mul_f32_e32 v206, 0x3f65296c, v91
	v_dual_add_f32 v102, v103, v102 :: v_dual_fmamk_f32 v103, v53, 0x3f65296c, v146
	v_mul_f32_e32 v163, 0xbf7ee86f, v50
	s_delay_alu instid0(VALU_DEP_4) | instskip(SKIP_1) | instid1(VALU_DEP_4)
	v_add_f32_e32 v143, v143, v205
	v_mul_f32_e32 v179, 0xbeb8f4ab, v54
	v_dual_add_f32 v102, v103, v102 :: v_dual_fmamk_f32 v103, v64, 0x3e3c28d5, v147
	s_delay_alu instid0(VALU_DEP_1) | instskip(SKIP_2) | instid1(VALU_DEP_2)
	v_add_f32_e32 v102, v103, v102
	v_fmamk_f32 v103, v83, 0xbf7ee86f, v148
	v_fmac_f32_e32 v148, 0x3f7ee86f, v83
	v_dual_add_f32 v102, v103, v102 :: v_dual_fmamk_f32 v103, v34, 0xbf59a7d5, v149
	s_delay_alu instid0(VALU_DEP_1) | instskip(NEXT) | instid1(VALU_DEP_2)
	v_add_f32_e32 v102, v104, v102
	v_dual_add_f32 v103, v103, v214 :: v_dual_fmamk_f32 v104, v36, 0x3f3d2fb0, v151
	s_delay_alu instid0(VALU_DEP_1) | instskip(SKIP_1) | instid1(VALU_DEP_2)
	v_dual_add_f32 v103, v104, v103 :: v_dual_fmamk_f32 v104, v38, 0x3ee437d1, v152
	v_fmac_f32_e32 v144, 0x3f2c7751, v51
	v_add_f32_e32 v103, v104, v103
	v_fmamk_f32 v104, v40, 0xbf7ba420, v153
	s_delay_alu instid0(VALU_DEP_3) | instskip(SKIP_2) | instid1(VALU_DEP_4)
	v_dual_fmac_f32 v150, 0xbeb8f4ab, v85 :: v_dual_add_f32 v143, v144, v143
	v_fma_f32 v144, 0xbf59a7d5, v34, -v149
	v_mul_f32_e32 v149, 0xbe3c28d5, v48
	v_dual_add_f32 v103, v104, v103 :: v_dual_mul_f32 v154, 0x3f7ee86f, v77
	s_delay_alu instid0(VALU_DEP_3) | instskip(NEXT) | instid1(VALU_DEP_2)
	v_add_f32_e32 v144, v144, v213
	v_fmamk_f32 v104, v42, 0x3dbcf732, v154
	s_delay_alu instid0(VALU_DEP_1) | instskip(SKIP_1) | instid1(VALU_DEP_1)
	v_add_f32_e32 v103, v104, v103
	v_fmamk_f32 v104, v44, 0x3f6eb680, v155
	v_dual_add_f32 v104, v104, v103 :: v_dual_fmamk_f32 v103, v91, 0x3f4c4adb, v156
	s_delay_alu instid0(VALU_DEP_1) | instskip(SKIP_1) | instid1(VALU_DEP_2)
	v_dual_add_f32 v103, v103, v102 :: v_dual_fmamk_f32 v102, v46, 0xbf1a4643, v157
	v_fmac_f32_e32 v146, 0xbf65296c, v53
	v_add_f32_e32 v102, v102, v104
	s_delay_alu instid0(VALU_DEP_2) | instskip(SKIP_2) | instid1(VALU_DEP_3)
	v_dual_fmamk_f32 v104, v49, 0xbf65296c, v108 :: v_dual_add_f32 v143, v146, v143
	v_fma_f32 v146, 0x3f3d2fb0, v36, -v151
	v_mul_f32_e32 v151, 0x3eb8f4ab, v52
	v_add_f32_e32 v104, v104, v204
	s_delay_alu instid0(VALU_DEP_3) | instskip(SKIP_1) | instid1(VALU_DEP_3)
	v_add_f32_e32 v144, v146, v144
	v_fma_f32 v146, 0x3ee437d1, v38, -v152
	v_add_f32_e32 v104, v105, v104
	s_delay_alu instid0(VALU_DEP_2) | instskip(SKIP_1) | instid1(VALU_DEP_2)
	v_dual_fmamk_f32 v105, v53, 0xbf4c4adb, v110 :: v_dual_add_f32 v144, v146, v144
	v_fma_f32 v146, 0xbf7ba420, v40, -v153
	v_dual_add_f32 v104, v105, v104 :: v_dual_fmamk_f32 v105, v64, 0x3eb8f4ab, v111
	s_delay_alu instid0(VALU_DEP_2) | instskip(SKIP_1) | instid1(VALU_DEP_3)
	v_add_f32_e32 v144, v146, v144
	v_fma_f32 v146, 0x3dbcf732, v42, -v154
	v_dual_add_f32 v104, v105, v104 :: v_dual_fmamk_f32 v105, v83, 0x3e3c28d5, v158
	v_fmac_f32_e32 v111, 0xbeb8f4ab, v64
	s_delay_alu instid0(VALU_DEP_3) | instskip(NEXT) | instid1(VALU_DEP_3)
	v_add_f32_e32 v144, v146, v144
	v_dual_add_f32 v104, v105, v104 :: v_dual_fmamk_f32 v105, v34, 0x3ee437d1, v161
	v_fmac_f32_e32 v108, 0x3f65296c, v49
	s_delay_alu instid0(VALU_DEP_2) | instskip(NEXT) | instid1(VALU_DEP_3)
	v_add_f32_e32 v104, v106, v104
	v_dual_add_f32 v105, v105, v212 :: v_dual_fmamk_f32 v106, v36, 0x3dbcf732, v163
	s_delay_alu instid0(VALU_DEP_1) | instskip(SKIP_1) | instid1(VALU_DEP_2)
	v_dual_add_f32 v108, v108, v203 :: v_dual_add_f32 v105, v106, v105
	v_fmamk_f32 v106, v38, 0xbf1a4643, v177
	v_add_f32_e32 v108, v109, v108
	v_fma_f32 v109, 0x3dbcf732, v36, -v163
	s_delay_alu instid0(VALU_DEP_3) | instskip(NEXT) | instid1(VALU_DEP_1)
	v_dual_add_f32 v105, v106, v105 :: v_dual_fmamk_f32 v106, v40, 0x3f6eb680, v179
	v_add_f32_e32 v105, v106, v105
	v_fmamk_f32 v106, v42, 0xbf7ba420, v180
	v_fmac_f32_e32 v156, 0xbf4c4adb, v91
	v_fmac_f32_e32 v147, 0xbe3c28d5, v64
	s_delay_alu instid0(VALU_DEP_3) | instskip(NEXT) | instid1(VALU_DEP_1)
	v_dual_add_f32 v105, v106, v105 :: v_dual_fmamk_f32 v106, v44, 0x3f3d2fb0, v181
	v_dual_add_f32 v143, v147, v143 :: v_dual_add_f32 v106, v106, v105
	v_fmamk_f32 v105, v91, 0x3f763a35, v182
	v_fmac_f32_e32 v182, 0xbf763a35, v91
	s_delay_alu instid0(VALU_DEP_3) | instskip(SKIP_3) | instid1(VALU_DEP_4)
	v_add_f32_e32 v143, v148, v143
	v_fma_f32 v146, 0x3f6eb680, v44, -v155
	v_mul_f32_e32 v208, 0x3f65296c, v92
	v_dual_add_f32 v105, v105, v104 :: v_dual_fmamk_f32 v104, v46, 0xbe8c1d8e, v183
	v_dual_add_f32 v143, v150, v143 :: v_dual_mul_f32 v148, 0x3eb8f4ab, v53
	s_delay_alu instid0(VALU_DEP_4) | instskip(NEXT) | instid1(VALU_DEP_3)
	v_dual_add_f32 v146, v146, v144 :: v_dual_mul_f32 v91, 0x3f2c7751, v91
	v_add_f32_e32 v104, v104, v106
	v_fmamk_f32 v106, v35, 0x3f6eb680, v184
	v_fma_f32 v147, 0xbf1a4643, v46, -v157
	v_add_f32_e32 v144, v156, v143
	s_delay_alu instid0(VALU_DEP_2) | instskip(SKIP_1) | instid1(VALU_DEP_2)
	v_dual_add_f32 v106, v106, v209 :: v_dual_add_f32 v143, v147, v146
	v_mul_f32_e32 v146, 0xbe3c28d5, v49
	v_dual_mul_f32 v147, 0x3f763a35, v51 :: v_dual_add_f32 v106, v107, v106
	v_fmamk_f32 v107, v39, 0x3f3d2fb0, v186
	v_fma_f32 v161, 0x3ee437d1, v34, -v161
	v_fmac_f32_e32 v162, 0x3f2c7751, v85
	s_delay_alu instid0(VALU_DEP_3) | instskip(NEXT) | instid1(VALU_DEP_3)
	v_dual_add_f32 v106, v107, v106 :: v_dual_fmamk_f32 v107, v41, 0xbf1a4643, v187
	v_dual_add_f32 v161, v161, v196 :: v_dual_fmac_f32 v110, 0x3f4c4adb, v53
	s_delay_alu instid0(VALU_DEP_1) | instskip(NEXT) | instid1(VALU_DEP_2)
	v_dual_add_f32 v106, v107, v106 :: v_dual_add_f32 v109, v109, v161
	v_add_f32_e32 v108, v110, v108
	v_fma_f32 v110, 0xbf1a4643, v38, -v177
	v_mul_f32_e32 v161, 0x3f763a35, v48
	v_fma_f32 v48, 0xbf7ba420, v34, -v149
	s_delay_alu instid0(VALU_DEP_3) | instskip(SKIP_2) | instid1(VALU_DEP_2)
	v_dual_add_f32 v108, v111, v108 :: v_dual_add_f32 v109, v110, v109
	v_fma_f32 v110, 0x3f6eb680, v40, -v179
	v_fma_f32 v111, 0xbe8c1d8e, v46, -v183
	v_add_f32_e32 v109, v110, v109
	v_fma_f32 v110, 0xbf7ba420, v42, -v180
	s_delay_alu instid0(VALU_DEP_1) | instskip(NEXT) | instid1(VALU_DEP_1)
	v_dual_mul_f32 v188, 0x3f65296c, v83 :: v_dual_add_f32 v109, v110, v109
	v_fmamk_f32 v107, v43, 0x3ee437d1, v188
	v_fma_f32 v110, 0x3f3d2fb0, v44, -v181
	s_delay_alu instid0(VALU_DEP_2) | instskip(SKIP_1) | instid1(VALU_DEP_3)
	v_add_f32_e32 v106, v107, v106
	v_fma_f32 v107, 0x3f6eb680, v34, -v189
	v_dual_add_f32 v110, v110, v109 :: v_dual_fmac_f32 v189, 0x3f6eb680, v34
	s_delay_alu instid0(VALU_DEP_3) | instskip(SKIP_1) | instid1(VALU_DEP_4)
	v_add_f32_e32 v106, v191, v106
	v_mul_f32_e32 v191, 0xbf06c442, v50
	v_add_f32_e32 v107, v107, v217
	s_delay_alu instid0(VALU_DEP_2) | instskip(NEXT) | instid1(VALU_DEP_1)
	v_fma_f32 v192, 0xbf59a7d5, v36, -v191
	v_dual_add_f32 v107, v192, v107 :: v_dual_mul_f32 v192, 0x3f2c7751, v52
	s_delay_alu instid0(VALU_DEP_1) | instskip(NEXT) | instid1(VALU_DEP_1)
	v_fma_f32 v193, 0x3f3d2fb0, v38, -v192
	v_add_f32_e32 v107, v193, v107
	v_mul_f32_e32 v193, 0xbf4c4adb, v54
	s_delay_alu instid0(VALU_DEP_1) | instskip(NEXT) | instid1(VALU_DEP_1)
	v_fma_f32 v194, 0xbf1a4643, v40, -v193
	v_dual_add_f32 v107, v194, v107 :: v_dual_mul_f32 v194, 0x3f65296c, v77
	s_delay_alu instid0(VALU_DEP_1) | instskip(NEXT) | instid1(VALU_DEP_1)
	v_fma_f32 v195, 0x3ee437d1, v42, -v194
	v_add_f32_e32 v107, v195, v107
	v_mul_f32_e32 v195, 0xbf763a35, v84
	s_delay_alu instid0(VALU_DEP_1) | instskip(SKIP_1) | instid1(VALU_DEP_2)
	v_fma_f32 v197, 0xbe8c1d8e, v44, -v195
	v_fmac_f32_e32 v195, 0xbe8c1d8e, v44
	v_add_f32_e32 v197, v197, v107
	v_fmamk_f32 v107, v47, 0x3dbcf732, v198
	s_delay_alu instid0(VALU_DEP_1) | instskip(NEXT) | instid1(VALU_DEP_1)
	v_dual_add_f32 v107, v107, v106 :: v_dual_fmac_f32 v158, 0xbe3c28d5, v83
	v_add_f32_e32 v108, v158, v108
	v_mul_f32_e32 v158, 0x3f763a35, v49
	s_delay_alu instid0(VALU_DEP_2) | instskip(SKIP_1) | instid1(VALU_DEP_2)
	v_dual_fmamk_f32 v49, v35, 0xbf7ba420, v146 :: v_dual_add_f32 v108, v162, v108
	v_mul_f32_e32 v162, 0xbeb8f4ab, v51
	v_add_f32_e32 v49, v49, v211
	v_fmamk_f32 v51, v37, 0xbe8c1d8e, v147
	s_delay_alu instid0(VALU_DEP_4) | instskip(SKIP_4) | instid1(VALU_DEP_4)
	v_dual_add_f32 v109, v182, v108 :: v_dual_add_f32 v108, v111, v110
	v_fmamk_f32 v110, v35, 0xbe8c1d8e, v158
	v_fmamk_f32 v163, v37, 0x3f6eb680, v162
	v_fma_f32 v111, 0xbe8c1d8e, v34, -v161
	v_add_f32_e32 v49, v51, v49
	v_dual_fmamk_f32 v51, v39, 0x3f6eb680, v148 :: v_dual_add_f32 v110, v110, v210
	v_fmac_f32_e32 v161, 0xbe8c1d8e, v34
	s_delay_alu instid0(VALU_DEP_4) | instskip(NEXT) | instid1(VALU_DEP_3)
	v_add_f32_e32 v111, v111, v218
	v_dual_fmac_f32 v194, 0x3ee437d1, v42 :: v_dual_add_f32 v49, v51, v49
	s_delay_alu instid0(VALU_DEP_4) | instskip(SKIP_1) | instid1(VALU_DEP_1)
	v_add_f32_e32 v110, v163, v110
	v_mul_f32_e32 v163, 0xbeb8f4ab, v50
	v_fma_f32 v177, 0x3f6eb680, v36, -v163
	s_delay_alu instid0(VALU_DEP_1) | instskip(SKIP_3) | instid1(VALU_DEP_3)
	v_add_f32_e32 v111, v177, v111
	v_mul_f32_e32 v177, 0xbf06c442, v53
	v_mul_f32_e32 v53, 0x3f6eb680, v43
	v_fmac_f32_e32 v192, 0x3f3d2fb0, v38
	v_fmamk_f32 v179, v39, 0xbf59a7d5, v177
	s_delay_alu instid0(VALU_DEP_3) | instskip(NEXT) | instid1(VALU_DEP_2)
	v_add_f32_e32 v53, v99, v53
	v_dual_add_f32 v110, v179, v110 :: v_dual_mul_f32 v179, 0xbf06c442, v52
	v_mul_f32_e32 v52, 0xbf1a4643, v34
	s_delay_alu instid0(VALU_DEP_2) | instskip(SKIP_1) | instid1(VALU_DEP_3)
	v_fma_f32 v180, 0xbf59a7d5, v38, -v179
	v_mul_f32_e32 v204, 0x3f7ee86f, v92
	v_sub_f32_e32 v52, v52, v86
	s_delay_alu instid0(VALU_DEP_3) | instskip(SKIP_1) | instid1(VALU_DEP_4)
	v_dual_mul_f32 v92, 0x3f2c7751, v92 :: v_dual_add_f32 v111, v180, v111
	v_mul_f32_e32 v180, 0x3f7ee86f, v64
	v_fma_f32 v106, 0x3dbcf732, v46, -v204
	v_mul_f32_e32 v64, 0xbf65296c, v64
	v_add_f32_e32 v48, v48, v219
	v_fmac_f32_e32 v204, 0x3dbcf732, v46
	s_delay_alu instid0(VALU_DEP_4) | instskip(NEXT) | instid1(VALU_DEP_4)
	v_dual_fmamk_f32 v181, v41, 0x3dbcf732, v180 :: v_dual_add_f32 v106, v106, v197
	v_fmamk_f32 v51, v41, 0x3ee437d1, v64
	s_delay_alu instid0(VALU_DEP_2) | instskip(SKIP_1) | instid1(VALU_DEP_3)
	v_add_f32_e32 v110, v181, v110
	v_mul_f32_e32 v181, 0x3f7ee86f, v54
	v_dual_add_f32 v49, v51, v49 :: v_dual_mul_f32 v150, 0x3f763a35, v50
	v_mul_f32_e32 v51, 0xbf7ba420, v37
	s_delay_alu instid0(VALU_DEP_3) | instskip(NEXT) | instid1(VALU_DEP_3)
	v_fma_f32 v182, 0x3dbcf732, v40, -v181
	v_fma_f32 v50, 0xbe8c1d8e, v36, -v150
	s_delay_alu instid0(VALU_DEP_3) | instskip(NEXT) | instid1(VALU_DEP_3)
	v_add_f32_e32 v51, v95, v51
	v_add_f32_e32 v111, v182, v111
	v_mul_f32_e32 v182, 0xbf2c7751, v83
	s_delay_alu instid0(VALU_DEP_4) | instskip(NEXT) | instid1(VALU_DEP_2)
	v_dual_add_f32 v48, v50, v48 :: v_dual_mul_f32 v83, 0xbf06c442, v83
	v_fmamk_f32 v183, v43, 0x3f3d2fb0, v182
	s_delay_alu instid0(VALU_DEP_2) | instskip(NEXT) | instid1(VALU_DEP_2)
	v_fmamk_f32 v50, v43, 0xbf59a7d5, v83
	v_dual_add_f32 v110, v183, v110 :: v_dual_mul_f32 v183, 0xbf2c7751, v77
	s_delay_alu instid0(VALU_DEP_2) | instskip(SKIP_4) | instid1(VALU_DEP_4)
	v_add_f32_e32 v49, v50, v49
	v_fma_f32 v50, 0x3f6eb680, v38, -v151
	v_mul_f32_e32 v54, 0xbf65296c, v54
	v_mul_f32_e32 v77, 0xbf06c442, v77
	v_fma_f32 v196, 0x3f3d2fb0, v42, -v183
	v_dual_fmac_f32 v183, 0x3f3d2fb0, v42 :: v_dual_add_f32 v48, v50, v48
	s_delay_alu instid0(VALU_DEP_4) | instskip(SKIP_1) | instid1(VALU_DEP_4)
	v_fma_f32 v50, 0x3ee437d1, v40, -v54
	v_fmac_f32_e32 v181, 0x3dbcf732, v40
	v_dual_add_f32 v111, v196, v111 :: v_dual_mul_f32 v196, 0xbe3c28d5, v85
	s_delay_alu instid0(VALU_DEP_3) | instskip(SKIP_2) | instid1(VALU_DEP_4)
	v_dual_mul_f32 v85, 0x3f4c4adb, v85 :: v_dual_add_f32 v48, v50, v48
	v_fma_f32 v50, 0xbf59a7d5, v42, -v77
	v_fmac_f32_e32 v163, 0x3f6eb680, v36
	v_fmamk_f32 v197, v45, 0xbf7ba420, v196
	v_fmac_f32_e32 v191, 0xbf59a7d5, v36
	v_fmac_f32_e32 v150, 0xbe8c1d8e, v36
	v_add_f32_e32 v48, v50, v48
	v_fmamk_f32 v50, v45, 0xbf1a4643, v85
	v_dual_add_f32 v110, v197, v110 :: v_dual_mul_f32 v197, 0xbe3c28d5, v84
	s_delay_alu instid0(VALU_DEP_2) | instskip(NEXT) | instid1(VALU_DEP_2)
	v_dual_add_f32 v49, v50, v49 :: v_dual_mul_f32 v84, 0x3f4c4adb, v84
	v_fma_f32 v203, 0xbf7ba420, v44, -v197
	v_fmac_f32_e32 v54, 0x3ee437d1, v40
	v_fmac_f32_e32 v179, 0xbf59a7d5, v38
	;; [unrolled: 1-line block ×3, first 2 shown]
	v_fma_f32 v50, 0xbf1a4643, v44, -v84
	v_add_f32_e32 v203, v203, v111
	s_delay_alu instid0(VALU_DEP_2) | instskip(SKIP_1) | instid1(VALU_DEP_2)
	v_dual_fmamk_f32 v111, v47, 0x3ee437d1, v206 :: v_dual_add_f32 v48, v50, v48
	v_fmamk_f32 v50, v47, 0x3f3d2fb0, v91
	v_add_f32_e32 v111, v111, v110
	v_fma_f32 v110, 0x3ee437d1, v46, -v208
	v_fmac_f32_e32 v208, 0x3ee437d1, v46
	v_fmac_f32_e32 v197, 0xbf7ba420, v44
	v_add_f32_e32 v49, v50, v49
	v_fma_f32 v50, 0x3f3d2fb0, v46, -v92
	v_add_f32_e32 v110, v110, v203
	s_delay_alu instid0(VALU_DEP_2) | instskip(SKIP_1) | instid1(VALU_DEP_1)
	v_add_f32_e32 v48, v50, v48
	v_mul_f32_e32 v50, 0xbf1a4643, v35
	v_add_f32_e32 v50, v94, v50
	s_delay_alu instid0(VALU_DEP_1) | instskip(NEXT) | instid1(VALU_DEP_1)
	v_add_f32_e32 v50, v50, v202
	v_dual_add_f32 v50, v51, v50 :: v_dual_mul_f32 v51, 0xbe8c1d8e, v39
	s_delay_alu instid0(VALU_DEP_1) | instskip(NEXT) | instid1(VALU_DEP_1)
	v_add_f32_e32 v51, v98, v51
	v_dual_add_f32 v50, v51, v50 :: v_dual_mul_f32 v51, 0x3f3d2fb0, v41
	s_delay_alu instid0(VALU_DEP_1) | instskip(NEXT) | instid1(VALU_DEP_1)
	v_add_f32_e32 v51, v100, v51
	v_dual_add_f32 v50, v51, v50 :: v_dual_add_f32 v51, v52, v201
	v_mul_f32_e32 v52, 0xbf7ba420, v36
	s_delay_alu instid0(VALU_DEP_1) | instskip(NEXT) | instid1(VALU_DEP_1)
	v_sub_f32_e32 v52, v52, v87
	v_dual_add_f32 v51, v52, v51 :: v_dual_mul_f32 v52, 0xbe8c1d8e, v38
	s_delay_alu instid0(VALU_DEP_1) | instskip(NEXT) | instid1(VALU_DEP_1)
	v_sub_f32_e32 v52, v52, v88
	v_dual_add_f32 v51, v52, v51 :: v_dual_mul_f32 v52, 0x3f3d2fb0, v40
	;; [unrolled: 3-line block ×3, first 2 shown]
	s_delay_alu instid0(VALU_DEP_1) | instskip(SKIP_1) | instid1(VALU_DEP_2)
	v_sub_f32_e32 v52, v52, v90
	v_dual_add_f32 v50, v53, v50 :: v_dual_mul_f32 v53, 0x3dbcf732, v45
	v_dual_add_f32 v51, v52, v51 :: v_dual_mul_f32 v52, 0x3dbcf732, v44
	s_delay_alu instid0(VALU_DEP_2) | instskip(NEXT) | instid1(VALU_DEP_2)
	v_add_f32_e32 v53, v96, v53
	v_sub_f32_e32 v52, v52, v93
	s_delay_alu instid0(VALU_DEP_2) | instskip(NEXT) | instid1(VALU_DEP_2)
	v_dual_add_f32 v50, v53, v50 :: v_dual_mul_f32 v53, 0xbf59a7d5, v47
	v_dual_add_f32 v52, v52, v51 :: v_dual_mul_f32 v51, 0xbf59a7d5, v46
	s_delay_alu instid0(VALU_DEP_2) | instskip(NEXT) | instid1(VALU_DEP_1)
	v_add_f32_e32 v53, v101, v53
	v_dual_sub_f32 v86, v51, v97 :: v_dual_add_f32 v51, v53, v50
	s_delay_alu instid0(VALU_DEP_1) | instskip(NEXT) | instid1(VALU_DEP_1)
	v_dual_mul_f32 v53, 0xbf1a4643, v37 :: v_dual_add_f32 v50, v86, v52
	v_dual_mul_f32 v52, 0x3dbcf732, v35 :: v_dual_add_f32 v53, v75, v53
	s_delay_alu instid0(VALU_DEP_1) | instskip(NEXT) | instid1(VALU_DEP_1)
	v_dual_add_f32 v52, v73, v52 :: v_dual_mul_f32 v73, 0x3dbcf732, v34
	v_sub_f32_e32 v55, v73, v55
	v_mul_f32_e32 v73, 0xbf1a4643, v36
	v_fma_f32 v36, 0xbf7ba420, v45, -v196
	s_delay_alu instid0(VALU_DEP_2) | instskip(NEXT) | instid1(VALU_DEP_1)
	v_dual_add_f32 v55, v55, v199 :: v_dual_sub_f32 v56, v73, v56
	v_add_f32_e32 v55, v56, v55
	v_add_f32_e32 v52, v52, v200
	v_mul_f32_e32 v56, 0xbf7ba420, v38
	s_delay_alu instid0(VALU_DEP_1) | instskip(NEXT) | instid1(VALU_DEP_3)
	v_sub_f32_e32 v56, v56, v57
	v_dual_add_f32 v52, v53, v52 :: v_dual_mul_f32 v53, 0xbf7ba420, v39
	s_delay_alu instid0(VALU_DEP_1) | instskip(NEXT) | instid1(VALU_DEP_1)
	v_add_f32_e32 v53, v80, v53
	v_dual_add_f32 v52, v53, v52 :: v_dual_mul_f32 v53, 0xbf59a7d5, v41
	s_delay_alu instid0(VALU_DEP_1) | instskip(NEXT) | instid1(VALU_DEP_1)
	v_add_f32_e32 v53, v81, v53
	;; [unrolled: 3-line block ×3, first 2 shown]
	v_dual_add_f32 v52, v53, v52 :: v_dual_add_f32 v53, v56, v55
	v_mul_f32_e32 v55, 0xbf59a7d5, v40
	s_delay_alu instid0(VALU_DEP_1) | instskip(SKIP_1) | instid1(VALU_DEP_2)
	v_dual_mul_f32 v56, 0x3ee437d1, v45 :: v_dual_sub_f32 v55, v55, v58
	v_fma_f32 v58, 0x3f6eb680, v37, -v162
	v_add_f32_e32 v53, v55, v53
	v_mul_f32_e32 v55, 0xbe8c1d8e, v42
	s_delay_alu instid0(VALU_DEP_1) | instskip(SKIP_1) | instid1(VALU_DEP_2)
	v_sub_f32_e32 v55, v55, v59
	v_fma_f32 v59, 0x3f3d2fb0, v43, -v182
	v_add_f32_e32 v53, v55, v53
	v_mul_f32_e32 v55, 0x3ee437d1, v44
	s_delay_alu instid0(VALU_DEP_1) | instskip(NEXT) | instid1(VALU_DEP_1)
	v_dual_sub_f32 v55, v55, v65 :: v_dual_add_f32 v56, v78, v56
	v_dual_add_f32 v55, v55, v53 :: v_dual_add_f32 v52, v56, v52
	v_dual_mul_f32 v53, 0x3f6eb680, v46 :: v_dual_mul_f32 v56, 0x3f6eb680, v47
	s_delay_alu instid0(VALU_DEP_1) | instskip(NEXT) | instid1(VALU_DEP_1)
	v_dual_sub_f32 v57, v53, v74 :: v_dual_add_f32 v56, v79, v56
	v_dual_add_f32 v53, v56, v52 :: v_dual_add_f32 v52, v57, v55
	v_fma_f32 v55, 0x3f6eb680, v35, -v184
	v_fma_f32 v56, 0xbf59a7d5, v37, -v185
	;; [unrolled: 1-line block ×3, first 2 shown]
	s_delay_alu instid0(VALU_DEP_3) | instskip(NEXT) | instid1(VALU_DEP_1)
	v_add_f32_e32 v55, v55, v207
	v_add_f32_e32 v55, v56, v55
	v_fma_f32 v56, 0x3f3d2fb0, v39, -v186
	s_delay_alu instid0(VALU_DEP_1) | instskip(SKIP_1) | instid1(VALU_DEP_1)
	v_add_f32_e32 v55, v56, v55
	v_add_f32_e32 v56, v189, v215
	;; [unrolled: 1-line block ×3, first 2 shown]
	s_delay_alu instid0(VALU_DEP_1) | instskip(NEXT) | instid1(VALU_DEP_1)
	v_add_f32_e32 v56, v192, v56
	v_add_f32_e32 v56, v193, v56
	;; [unrolled: 1-line block ×3, first 2 shown]
	v_fma_f32 v57, 0x3ee437d1, v43, -v188
	s_delay_alu instid0(VALU_DEP_1) | instskip(SKIP_1) | instid1(VALU_DEP_1)
	v_dual_add_f32 v56, v194, v56 :: v_dual_add_f32 v55, v57, v55
	v_fma_f32 v57, 0xbe8c1d8e, v45, -v190
	v_add_f32_e32 v55, v57, v55
	v_fma_f32 v57, 0xbe8c1d8e, v35, -v158
	s_delay_alu instid0(VALU_DEP_4)
	v_add_f32_e32 v56, v195, v56
	v_fmac_f32_e32 v84, 0xbf1a4643, v44
	v_fmac_f32_e32 v151, 0x3f6eb680, v38
	v_fmac_f32_e32 v149, 0xbf7ba420, v34
	v_add_f32_e32 v57, v57, v178
	v_fma_f32 v35, 0xbf7ba420, v35, -v146
	v_fma_f32 v38, 0x3ee437d1, v47, -v206
	s_delay_alu instid0(VALU_DEP_3) | instskip(SKIP_1) | instid1(VALU_DEP_2)
	v_dual_add_f32 v32, v149, v32 :: v_dual_add_f32 v57, v58, v57
	v_fma_f32 v58, 0xbf59a7d5, v39, -v177
	v_add_f32_e32 v32, v150, v32
	s_delay_alu instid0(VALU_DEP_2) | instskip(SKIP_1) | instid1(VALU_DEP_1)
	v_add_f32_e32 v57, v58, v57
	v_fma_f32 v58, 0x3dbcf732, v41, -v180
	v_dual_add_f32 v32, v151, v32 :: v_dual_add_f32 v57, v58, v57
	s_delay_alu instid0(VALU_DEP_1) | instskip(NEXT) | instid1(VALU_DEP_1)
	v_dual_add_f32 v32, v54, v32 :: v_dual_add_f32 v57, v59, v57
	v_add_f32_e32 v36, v36, v57
	v_add_f32_e32 v58, v161, v164
	v_fmac_f32_e32 v92, 0x3f3d2fb0, v46
	v_fmac_f32_e32 v77, 0xbf59a7d5, v42
	s_delay_alu instid0(VALU_DEP_3) | instskip(NEXT) | instid1(VALU_DEP_2)
	v_add_f32_e32 v58, v163, v58
	v_add_f32_e32 v32, v77, v32
	s_delay_alu instid0(VALU_DEP_2) | instskip(NEXT) | instid1(VALU_DEP_1)
	v_add_f32_e32 v34, v179, v58
	v_add_f32_e32 v34, v181, v34
	s_delay_alu instid0(VALU_DEP_1) | instskip(SKIP_3) | instid1(VALU_DEP_2)
	v_add_f32_e32 v34, v183, v34
	v_add_f32_e32 v33, v35, v33
	v_fma_f32 v35, 0xbe8c1d8e, v37, -v147
	v_fma_f32 v37, 0xbf1a4643, v45, -v85
	v_dual_add_f32 v34, v197, v34 :: v_dual_add_f32 v33, v35, v33
	v_fma_f32 v35, 0x3f6eb680, v39, -v148
	v_fma_f32 v39, 0x3f3d2fb0, v47, -v91
	s_delay_alu instid0(VALU_DEP_2) | instskip(SKIP_1) | instid1(VALU_DEP_1)
	v_add_f32_e32 v33, v35, v33
	v_fma_f32 v35, 0x3ee437d1, v41, -v64
	v_add_f32_e32 v33, v35, v33
	v_fma_f32 v35, 0xbf59a7d5, v43, -v83
	s_delay_alu instid0(VALU_DEP_1) | instskip(SKIP_1) | instid1(VALU_DEP_2)
	v_add_f32_e32 v35, v35, v33
	v_fma_f32 v33, 0x3dbcf732, v47, -v198
	v_add_f32_e32 v37, v37, v35
	s_delay_alu instid0(VALU_DEP_2) | instskip(SKIP_2) | instid1(VALU_DEP_3)
	v_dual_add_f32 v33, v33, v55 :: v_dual_add_f32 v40, v84, v32
	v_add_f32_e32 v32, v204, v56
	v_dual_add_f32 v35, v38, v36 :: v_dual_add_f32 v34, v208, v34
	v_dual_add_f32 v37, v39, v37 :: v_dual_add_f32 v36, v92, v40
	ds_store_2addr_b64 v145, v[52:53], v[50:51] offset0:4 offset1:6
	ds_store_2addr_b64 v145, v[48:49], v[143:144] offset0:8 offset1:10
	;; [unrolled: 1-line block ×7, first 2 shown]
	ds_store_b64 v145, v[159:160] offset:256
.LBB0_11:
	s_wait_alu 0xfffe
	s_or_b32 exec_lo, exec_lo, s1
	v_add_nc_u32_e32 v40, 0x800, v165
	v_add_nc_u32_e32 v41, 0x1000, v165
	v_add_nc_u32_e32 v42, 0x1400, v165
	v_add_nc_u32_e32 v48, 0x1800, v165
	global_wb scope:SCOPE_SE
	s_wait_dscnt 0x0
	s_barrier_signal -1
	s_barrier_wait -1
	global_inv scope:SCOPE_SE
	ds_load_2addr_b64 v[36:39], v165 offset1:68
	ds_load_2addr_b64 v[32:35], v40 offset0:152 offset1:254
	ds_load_2addr_b64 v[56:59], v41 offset0:66 offset1:134
	;; [unrolled: 1-line block ×6, first 2 shown]
	v_lshlrev_b32_e32 v64, 1, v166
	s_and_saveexec_b32 s1, vcc_lo
	s_cbranch_execz .LBB0_13
; %bb.12:
	ds_load_b64 v[60:61], v165 offset:3808
	ds_load_b64 v[62:63], v165 offset:7888
.LBB0_13:
	s_wait_alu 0xfffe
	s_or_b32 exec_lo, exec_lo, s1
	v_and_b32_e32 v73, 0xff, v68
	v_add_co_u32 v75, s1, 0xffffffde, v166
	s_wait_alu 0xf1ff
	v_add_co_ci_u32_e64 v77, null, 0, -1, s1
	s_delay_alu instid0(VALU_DEP_3) | instskip(SKIP_2) | instid1(VALU_DEP_4)
	v_mul_lo_u16 v73, 0xf1, v73
	v_and_b32_e32 v82, 0xffff, v67
	v_and_b32_e32 v65, 0xff, v72
	v_cndmask_b32_e64 v78, v77, 0, vcc_lo
	v_cndmask_b32_e32 v77, v75, v166, vcc_lo
	v_lshrrev_b16 v80, 13, v73
	v_and_b32_e32 v87, 0xffff, v71
	v_mul_lo_u16 v74, 0xf1, v65
	v_and_b32_e32 v89, 0xffff, v70
	s_delay_alu instid0(VALU_DEP_4) | instskip(NEXT) | instid1(VALU_DEP_4)
	v_mul_lo_u16 v79, v80, 34
	v_mul_u32_u24_e32 v87, 0xf0f1, v87
	s_delay_alu instid0(VALU_DEP_4) | instskip(NEXT) | instid1(VALU_DEP_4)
	v_lshrrev_b16 v81, 13, v74
	v_mul_u32_u24_e32 v89, 0xf0f1, v89
	s_delay_alu instid0(VALU_DEP_4)
	v_sub_nc_u16 v84, v68, v79
	v_lshlrev_b64_e32 v[78:79], 3, v[77:78]
	v_lshrrev_b32_e32 v87, 21, v87
	v_mul_lo_u16 v83, v81, 34
	v_lshrrev_b32_e32 v89, 21, v89
	v_and_b32_e32 v84, 0xff, v84
	v_add_co_u32 v78, s1, s2, v78
	s_wait_alu 0xf1ff
	v_add_co_ci_u32_e64 v79, s1, s3, v79, s1
	s_delay_alu instid0(VALU_DEP_3)
	v_lshlrev_b32_e32 v85, 3, v84
	v_sub_nc_u16 v83, v72, v83
	v_mul_lo_u16 v89, v89, 34
	global_load_b64 v[155:156], v[78:79], off offset:256
	v_and_b32_e32 v73, 0xffff, v66
	v_mul_lo_u16 v78, v87, 34
	global_load_b64 v[157:158], v85, s[2:3] offset:256
	v_sub_nc_u16 v70, v70, v89
	v_cmp_lt_u16_e64 s1, 33, v166
	v_mul_u32_u24_e32 v74, 0xf0f1, v73
	v_mul_u32_u24_e32 v73, 0xf0f1, v82
	v_sub_nc_u16 v71, v71, v78
	v_and_b32_e32 v177, 0xffff, v70
	s_delay_alu instid0(VALU_DEP_4) | instskip(NEXT) | instid1(VALU_DEP_4)
	v_lshrrev_b32_e32 v82, 21, v74
	v_lshrrev_b32_e32 v88, 21, v73
	s_delay_alu instid0(VALU_DEP_2) | instskip(NEXT) | instid1(VALU_DEP_2)
	v_mul_lo_u16 v90, v82, 34
	v_mul_lo_u16 v91, v88, 34
	s_delay_alu instid0(VALU_DEP_2) | instskip(NEXT) | instid1(VALU_DEP_2)
	v_sub_nc_u16 v90, v66, v90
	v_sub_nc_u16 v91, v67, v91
	s_delay_alu instid0(VALU_DEP_2) | instskip(NEXT) | instid1(VALU_DEP_2)
	v_and_b32_e32 v79, 0xffff, v90
	v_and_b32_e32 v93, 0xffff, v91
	s_delay_alu instid0(VALU_DEP_2) | instskip(SKIP_3) | instid1(VALU_DEP_2)
	v_lshlrev_b32_e32 v78, 3, v79
	global_load_b64 v[151:152], v78, s[2:3] offset:256
	v_and_b32_e32 v83, 0xff, v83
	v_lshlrev_b32_e32 v79, 3, v93
	v_lshlrev_b32_e32 v86, 3, v83
	s_clause 0x1
	global_load_b64 v[153:154], v86, s[2:3] offset:256
	global_load_b64 v[147:148], v79, s[2:3] offset:256
	v_and_b32_e32 v75, 0xffff, v69
	v_lshlrev_b32_e32 v79, 3, v177
	s_delay_alu instid0(VALU_DEP_2) | instskip(NEXT) | instid1(VALU_DEP_1)
	v_mul_u32_u24_e32 v75, 0xf0f1, v75
	v_lshrrev_b32_e32 v75, 21, v75
	s_delay_alu instid0(VALU_DEP_1) | instskip(NEXT) | instid1(VALU_DEP_1)
	v_mul_lo_u16 v92, v75, 34
	v_sub_nc_u16 v69, v69, v92
	v_and_b32_e32 v92, 0xffff, v71
	v_mad_u16 v71, 0x44, v87, v71
	s_delay_alu instid0(VALU_DEP_3) | instskip(SKIP_1) | instid1(VALU_DEP_3)
	v_and_b32_e32 v89, 0xffff, v69
	v_mad_u16 v69, 0x44, v75, v69
	v_and_b32_e32 v71, 0xffff, v71
	s_delay_alu instid0(VALU_DEP_3) | instskip(NEXT) | instid1(VALU_DEP_3)
	v_lshlrev_b32_e32 v70, 3, v89
	v_and_b32_e32 v69, 0xffff, v69
	s_delay_alu instid0(VALU_DEP_3) | instskip(NEXT) | instid1(VALU_DEP_2)
	v_lshl_add_u32 v179, v71, 3, v167
	v_lshl_add_u32 v180, v69, 3, v167
	s_wait_loadcnt_dscnt 0x304
	v_mul_f32_e32 v69, v57, v158
	s_wait_loadcnt 0x1
	v_dual_mul_f32 v71, v59, v154 :: v_dual_lshlrev_b32 v78, 3, v92
	s_clause 0x2
	global_load_b64 v[149:150], v70, s[2:3] offset:256
	global_load_b64 v[145:146], v78, s[2:3] offset:256
	;; [unrolled: 1-line block ×3, first 2 shown]
	s_wait_alu 0xf1ff
	v_cndmask_b32_e64 v70, 0, 0x44, s1
	v_and_b32_e32 v78, 0xffff, v81
	v_mad_u16 v79, 0x44, v88, v91
	global_wb scope:SCOPE_SE
	s_wait_loadcnt_dscnt 0x0
	s_barrier_signal -1
	v_add_nc_u32_e32 v70, v77, v70
	v_and_b32_e32 v77, 0xffff, v80
	v_mul_f32_e32 v80, v34, v156
	s_barrier_wait -1
	global_inv scope:SCOPE_SE
	v_lshl_add_u32 v178, v70, 3, v167
	v_mul_u32_u24_e32 v70, 0x44, v77
	v_mul_u32_u24_e32 v77, 0x44, v78
	v_mad_u16 v78, 0x44, v82, v90
	v_fmac_f32_e32 v80, v35, v155
	s_delay_alu instid0(VALU_DEP_4) | instskip(NEXT) | instid1(VALU_DEP_4)
	v_add_nc_u32_e32 v70, v70, v84
	v_add_nc_u32_e32 v75, v77, v83
	v_mul_f32_e32 v81, v49, v150
	v_mul_f32_e32 v83, v51, v146
	s_delay_alu instid0(VALU_DEP_4) | instskip(SKIP_4) | instid1(VALU_DEP_4)
	v_lshl_add_u32 v184, v70, 3, v167
	v_mul_f32_e32 v70, v56, v158
	v_fma_f32 v56, v56, v157, -v69
	v_dual_mul_f32 v85, v63, v144 :: v_dual_mul_f32 v82, v48, v150
	v_mul_f32_e32 v84, v50, v146
	v_fmac_f32_e32 v70, v57, v157
	v_fma_f32 v57, v58, v153, -v71
	v_and_b32_e32 v77, 0xffff, v78
	v_dual_mul_f32 v79, v35, v156 :: v_dual_and_b32 v78, 0xffff, v79
	v_sub_f32_e32 v35, v37, v80
	v_mul_f32_e32 v80, v54, v148
	v_mul_f32_e32 v86, v62, v144
	s_delay_alu instid0(VALU_DEP_4)
	v_lshl_add_u32 v181, v78, 3, v167
	v_fma_f32 v34, v34, v155, -v79
	v_fma_f32 v37, v37, 2.0, -v35
	v_mul_f32_e32 v78, v52, v152
	v_mul_f32_e32 v79, v55, v148
	v_fmac_f32_e32 v80, v55, v147
	v_sub_f32_e32 v34, v36, v34
	v_fmac_f32_e32 v82, v49, v149
	v_fmac_f32_e32 v78, v53, v151
	v_fma_f32 v55, v50, v145, -v83
	v_fmac_f32_e32 v84, v51, v145
	v_fma_f32 v36, v36, 2.0, -v34
	v_fmac_f32_e32 v86, v63, v143
	v_sub_f32_e32 v49, v47, v78
	v_sub_f32_e32 v51, v41, v80
	ds_store_2addr_b64 v178, v[36:37], v[34:35] offset1:34
	v_sub_f32_e32 v34, v38, v56
	v_lshl_add_u32 v183, v75, 3, v167
	v_dual_mul_f32 v75, v58, v154 :: v_dual_sub_f32 v36, v44, v57
	v_lshl_add_u32 v182, v77, 3, v167
	v_mul_f32_e32 v77, v53, v152
	v_fma_f32 v53, v54, v147, -v79
	v_fma_f32 v54, v48, v149, -v81
	v_fmac_f32_e32 v75, v59, v153
	v_fma_f32 v58, v62, v143, -v85
	v_fma_f32 v52, v52, v151, -v77
	v_dual_sub_f32 v35, v39, v70 :: v_dual_sub_f32 v50, v40, v53
	v_sub_f32_e32 v53, v43, v82
	s_delay_alu instid0(VALU_DEP_3)
	v_dual_sub_f32 v161, v60, v58 :: v_dual_sub_f32 v48, v46, v52
	v_sub_f32_e32 v52, v42, v54
	v_sub_f32_e32 v54, v32, v55
	v_sub_f32_e32 v37, v45, v75
	v_sub_f32_e32 v55, v33, v84
	v_sub_f32_e32 v162, v61, v86
	v_fma_f32 v38, v38, 2.0, -v34
	v_fma_f32 v39, v39, 2.0, -v35
	;; [unrolled: 1-line block ×12, first 2 shown]
	ds_store_2addr_b64 v184, v[38:39], v[34:35] offset1:34
	ds_store_2addr_b64 v183, v[44:45], v[36:37] offset1:34
	;; [unrolled: 1-line block ×6, first 2 shown]
	s_and_saveexec_b32 s1, vcc_lo
	s_cbranch_execz .LBB0_15
; %bb.14:
	v_lshl_add_u32 v34, v177, 3, v167
	v_fma_f32 v33, v61, 2.0, -v162
	v_fma_f32 v32, v60, 2.0, -v161
	s_delay_alu instid0(VALU_DEP_3)
	v_add_nc_u32_e32 v34, 0x1800, v34
	ds_store_2addr_b64 v34, v[32:33], v[161:162] offset0:184 offset1:218
.LBB0_15:
	s_wait_alu 0xfffe
	s_or_b32 exec_lo, exec_lo, s1
	v_mul_lo_u16 v36, 0x79, v65
	v_lshrrev_b32_e32 v37, 22, v74
	v_lshlrev_b32_e32 v32, 3, v64
	v_lshrrev_b32_e32 v38, 22, v73
	global_wb scope:SCOPE_SE
	s_wait_dscnt 0x0
	v_lshrrev_b16 v36, 13, v36
	v_mul_lo_u16 v37, 0x44, v37
	s_barrier_signal -1
	s_barrier_wait -1
	global_inv scope:SCOPE_SE
	v_mul_lo_u16 v36, 0x44, v36
	global_load_b128 v[32:35], v32, s[2:3] offset:528
	v_mul_lo_u16 v38, 0x44, v38
	v_sub_nc_u16 v69, v66, v37
	v_lshl_add_u32 v185, v166, 3, v167
	v_sub_nc_u16 v36, v72, v36
	s_delay_alu instid0(VALU_DEP_4) | instskip(NEXT) | instid1(VALU_DEP_4)
	v_sub_nc_u16 v70, v67, v38
	v_lshlrev_b16 v37, 4, v69
	s_delay_alu instid0(VALU_DEP_4) | instskip(NEXT) | instid1(VALU_DEP_4)
	v_add_nc_u32_e32 v110, 0x1200, v185
	v_and_b32_e32 v71, 0xff, v36
	s_delay_alu instid0(VALU_DEP_4) | instskip(NEXT) | instid1(VALU_DEP_2)
	v_lshlrev_b16 v38, 4, v70
	v_lshlrev_b32_e32 v39, 4, v71
	global_load_b128 v[44:47], v39, s[2:3] offset:528
	v_and_b32_e32 v36, 0xffff, v37
	v_and_b32_e32 v38, 0xffff, v38
	v_add_nc_u32_e32 v84, 0x800, v165
	v_add_nc_u32_e32 v80, 0x1000, v165
	s_delay_alu instid0(VALU_DEP_4)
	v_add_co_u32 v36, s1, s2, v36
	s_wait_alu 0xf1ff
	v_add_co_ci_u32_e64 v37, null, s3, 0, s1
	v_add_co_u32 v38, s1, s2, v38
	s_wait_alu 0xf1ff
	v_add_co_ci_u32_e64 v39, null, s3, 0, s1
	s_clause 0x1
	global_load_b128 v[40:43], v[36:37], off offset:528
	global_load_b128 v[36:39], v[38:39], off offset:528
	ds_load_2addr_b64 v[48:51], v165 offset1:68
	ds_load_2addr_b64 v[52:55], v165 offset0:136 offset1:204
	ds_load_2addr_b64 v[56:59], v84 offset0:16 offset1:84
	;; [unrolled: 1-line block ×4, first 2 shown]
	v_and_b32_e32 v73, 0xffff, v69
	v_and_b32_e32 v74, 0xffff, v70
	ds_load_b64 v[69:70], v165 offset:7616
	s_wait_loadcnt_dscnt 0x301
	v_mul_f32_e32 v83, v64, v33
	v_mul_f32_e32 v78, v58, v33
	v_add_nc_u32_e32 v85, 0x1800, v165
	v_mul_f32_e32 v81, v60, v35
	v_mul_f32_e32 v77, v59, v33
	s_delay_alu instid0(VALU_DEP_4) | instskip(SKIP_1) | instid1(VALU_DEP_4)
	v_dual_mul_f32 v79, v61, v35 :: v_dual_fmac_f32 v78, v59, v32
	v_mul_f32_e32 v82, v65, v33
	v_dual_mul_f32 v94, v63, v35 :: v_dual_fmac_f32 v81, v61, v34
	ds_load_2addr_b64 v[86:89], v85 offset0:48 offset1:116
	ds_load_2addr_b64 v[90:93], v80 offset0:32 offset1:100
	v_lshl_add_u32 v188, v71, 3, v167
	v_mul_f32_e32 v95, v62, v35
	v_fma_f32 v58, v58, v32, -v77
	v_fma_f32 v59, v60, v34, -v79
	;; [unrolled: 1-line block ×4, first 2 shown]
	v_dual_sub_f32 v64, v78, v81 :: v_dual_lshlrev_b32 v75, 5, v166
	v_lshl_add_u32 v187, v73, 3, v167
	v_lshl_add_u32 v186, v74, 3, v167
	v_dual_fmac_f32 v95, v63, v34 :: v_dual_add_nc_u32 v74, 0x800, v188
	v_dual_fmac_f32 v83, v65, v32 :: v_dual_add_f32 v82, v60, v61
	v_add_f32_e32 v79, v50, v60
	v_add_f32_e32 v63, v58, v59
	s_delay_alu instid0(VALU_DEP_3)
	v_dual_add_f32 v77, v78, v81 :: v_dual_add_f32 v96, v51, v83
	v_dual_add_f32 v62, v48, v58 :: v_dual_add_nc_u32 v71, 0x1000, v187
	v_dual_add_f32 v65, v49, v78 :: v_dual_sub_f32 v94, v83, v95
	v_sub_f32_e32 v97, v60, v61
	v_add_f32_e32 v60, v79, v61
	v_fma_f32 v48, -0.5, v63, v48
	v_add_f32_e32 v83, v83, v95
	v_dual_sub_f32 v78, v58, v59 :: v_dual_add_nc_u32 v73, 0x1800, v186
	v_fma_f32 v49, -0.5, v77, v49
	v_add_f32_e32 v58, v62, v59
	v_fma_f32 v50, -0.5, v82, v50
	v_fmamk_f32 v62, v64, 0x3f5db3d7, v48
	v_dual_fmac_f32 v48, 0xbf5db3d7, v64 :: v_dual_fmac_f32 v51, -0.5, v83
	s_delay_alu instid0(VALU_DEP_3)
	v_dual_add_f32 v59, v65, v81 :: v_dual_fmamk_f32 v64, v94, 0x3f5db3d7, v50
	s_wait_loadcnt_dscnt 0x100
	v_dual_fmamk_f32 v63, v78, 0xbf5db3d7, v49 :: v_dual_mul_f32 v82, v91, v41
	v_fmac_f32_e32 v49, 0x3f5db3d7, v78
	v_mul_f32_e32 v77, v67, v45
	v_dual_mul_f32 v78, v66, v45 :: v_dual_add_f32 v61, v96, v95
	v_dual_fmac_f32 v50, 0xbf5db3d7, v94 :: v_dual_fmamk_f32 v65, v97, 0xbf5db3d7, v51
	s_wait_loadcnt 0x0
	v_dual_mul_f32 v98, v70, v39 :: v_dual_fmac_f32 v51, 0x3f5db3d7, v97
	s_delay_alu instid0(VALU_DEP_3)
	v_fmac_f32_e32 v78, v67, v44
	global_wb scope:SCOPE_SE
	s_barrier_signal -1
	s_barrier_wait -1
	global_inv scope:SCOPE_SE
	v_dual_mul_f32 v79, v87, v47 :: v_dual_mul_f32 v96, v93, v37
	v_mul_f32_e32 v94, v89, v43
	ds_store_2addr_b64 v165, v[58:59], v[62:63] offset1:68
	ds_store_2addr_b64 v165, v[48:49], v[60:61] offset0:136 offset1:204
	ds_store_2addr_b64 v84, v[64:65], v[50:51] offset0:16 offset1:84
	v_fma_f32 v48, v66, v44, -v77
	v_fma_f32 v50, v90, v40, -v82
	v_mul_f32_e32 v97, v92, v37
	v_fma_f32 v49, v86, v46, -v79
	v_fma_f32 v51, v92, v36, -v96
	;; [unrolled: 1-line block ×3, first 2 shown]
	s_delay_alu instid0(VALU_DEP_4) | instskip(SKIP_1) | instid1(VALU_DEP_3)
	v_dual_add_f32 v66, v54, v50 :: v_dual_fmac_f32 v97, v93, v36
	v_dual_mul_f32 v81, v86, v47 :: v_dual_add_f32 v60, v52, v48
	v_dual_mul_f32 v83, v90, v41 :: v_dual_add_f32 v82, v51, v59
	v_fma_f32 v58, v88, v42, -v94
	v_add_f32_e32 v61, v48, v49
	v_sub_f32_e32 v65, v48, v49
	v_dual_add_f32 v86, v57, v97 :: v_dual_fmac_f32 v81, v87, v46
	v_add_f32_e32 v48, v60, v49
	v_mul_f32_e32 v95, v88, v43
	v_mul_f32_e32 v99, v69, v39
	s_delay_alu instid0(VALU_DEP_4)
	v_dual_fmac_f32 v83, v91, v40 :: v_dual_sub_f32 v62, v78, v81
	v_dual_add_f32 v63, v53, v78 :: v_dual_add_f32 v64, v78, v81
	v_sub_f32_e32 v78, v50, v58
	v_fmac_f32_e32 v95, v89, v42
	v_add_f32_e32 v79, v56, v51
	v_dual_fmac_f32 v99, v70, v38 :: v_dual_add_f32 v70, v55, v83
	v_sub_f32_e32 v88, v51, v59
	s_delay_alu instid0(VALU_DEP_4)
	v_sub_f32_e32 v69, v83, v95
	v_add_f32_e32 v67, v50, v58
	v_fma_f32 v50, -0.5, v61, v52
	v_add_f32_e32 v52, v66, v58
	v_add_f32_e32 v58, v79, v59
	;; [unrolled: 1-line block ×3, first 2 shown]
	v_fma_f32 v54, -0.5, v67, v54
	v_add_f32_e32 v77, v83, v95
	v_fma_f32 v51, -0.5, v64, v53
	v_fmamk_f32 v60, v62, 0x3f5db3d7, v50
	v_fmac_f32_e32 v50, 0xbf5db3d7, v62
	v_fmamk_f32 v62, v69, 0x3f5db3d7, v54
	v_fmac_f32_e32 v54, 0xbf5db3d7, v69
	v_fmac_f32_e32 v55, -0.5, v77
	v_sub_f32_e32 v83, v97, v99
	v_fma_f32 v56, -0.5, v82, v56
	v_fmac_f32_e32 v57, -0.5, v87
	v_add_f32_e32 v49, v63, v81
	v_fmamk_f32 v61, v65, 0xbf5db3d7, v51
	v_add_f32_e32 v53, v70, v95
	v_fmamk_f32 v63, v78, 0xbf5db3d7, v55
	v_add_f32_e32 v59, v86, v99
	v_dual_fmac_f32 v51, 0x3f5db3d7, v65 :: v_dual_fmamk_f32 v64, v83, 0x3f5db3d7, v56
	v_fmamk_f32 v65, v88, 0xbf5db3d7, v57
	v_fmac_f32_e32 v55, 0x3f5db3d7, v78
	v_fmac_f32_e32 v56, 0xbf5db3d7, v83
	;; [unrolled: 1-line block ×3, first 2 shown]
	ds_store_2addr_b64 v74, v[48:49], v[60:61] offset0:152 offset1:220
	ds_store_2addr_b64 v71, v[52:53], v[62:63] offset0:100 offset1:168
	;; [unrolled: 1-line block ×3, first 2 shown]
	ds_store_b64 v188, v[50:51] offset:4352
	ds_store_b64 v187, v[54:55] offset:5984
	;; [unrolled: 1-line block ×3, first 2 shown]
	v_lshlrev_b32_e32 v48, 5, v68
	global_wb scope:SCOPE_SE
	s_wait_dscnt 0x0
	s_barrier_signal -1
	s_barrier_wait -1
	global_inv scope:SCOPE_SE
	s_clause 0x2
	global_load_b128 v[64:67], v75, s[2:3] offset:1616
	global_load_b128 v[68:71], v75, s[2:3] offset:1632
	;; [unrolled: 1-line block ×3, first 2 shown]
	v_lshlrev_b32_e32 v49, 5, v72
	s_clause 0x2
	global_load_b128 v[60:63], v48, s[2:3] offset:1632
	global_load_b128 v[56:59], v49, s[2:3] offset:1616
	;; [unrolled: 1-line block ×3, first 2 shown]
	ds_load_2addr_b64 v[72:75], v165 offset0:136 offset1:204
	ds_load_2addr_b64 v[86:89], v84 offset0:152 offset1:220
	;; [unrolled: 1-line block ×6, first 2 shown]
	ds_load_2addr_b64 v[106:109], v165 offset1:68
	ds_load_b64 v[77:78], v165 offset:7616
	s_add_nc_u64 s[2:3], s[16:17], 0x1fe0
	s_wait_loadcnt_dscnt 0x507
	v_mul_f32_e32 v82, v74, v65
	s_wait_loadcnt_dscnt 0x404
	v_mul_f32_e32 v191, v94, v71
	v_add_nc_u32_e32 v79, 0x600, v165
	v_dual_mul_f32 v111, v87, v67 :: v_dual_mul_f32 v164, v93, v69
	v_mul_f32_e32 v190, v95, v71
	v_fmac_f32_e32 v82, v75, v64
	v_fmac_f32_e32 v191, v95, v70
	v_mul_f32_e32 v189, v92, v69
	v_mul_f32_e32 v81, v75, v65
	s_wait_loadcnt_dscnt 0x303
	v_mul_f32_e32 v192, v99, v53
	v_mul_f32_e32 v194, v89, v55
	s_wait_loadcnt_dscnt 0x202
	v_mul_f32_e32 v196, v103, v61
	v_mul_f32_e32 v198, v97, v63
	s_wait_loadcnt 0x0
	v_mul_f32_e32 v204, v105, v49
	v_fma_f32 v75, v86, v66, -v111
	v_mul_f32_e32 v163, v86, v67
	v_fma_f32 v86, v92, v68, -v164
	v_fma_f32 v111, v94, v70, -v190
	v_dual_add_f32 v190, v82, v191 :: v_dual_fmac_f32 v189, v93, v68
	v_mul_f32_e32 v199, v96, v63
	v_mul_f32_e32 v197, v102, v61
	v_fma_f32 v92, v102, v60, -v196
	v_fma_f32 v102, v96, v62, -v198
	;; [unrolled: 1-line block ×3, first 2 shown]
	v_sub_f32_e32 v96, v86, v111
	v_fma_f32 v74, v74, v64, -v81
	v_fma_f32 v81, v98, v52, -v192
	v_dual_sub_f32 v164, v191, v189 :: v_dual_fmac_f32 v199, v97, v62
	v_dual_mul_f32 v205, v104, v49 :: v_dual_sub_f32 v104, v75, v86
	v_fmac_f32_e32 v163, v87, v66
	v_fma_f32 v87, v88, v54, -v194
	v_mul_f32_e32 v193, v98, v53
	v_mul_f32_e32 v200, v101, v57
	v_dual_mul_f32 v202, v91, v59 :: v_dual_mul_f32 v201, v100, v57
	s_delay_alu instid0(VALU_DEP_4)
	v_add_f32_e32 v196, v87, v92
	v_dual_sub_f32 v208, v87, v81 :: v_dual_mul_f32 v195, v88, v55
	v_add_f32_e32 v98, v163, v189
	s_wait_dscnt 0x0
	v_mul_f32_e32 v206, v78, v51
	v_dual_mul_f32 v207, v77, v51 :: v_dual_sub_f32 v204, v102, v92
	v_fmac_f32_e32 v193, v99, v52
	v_fma_f32 v88, v100, v56, -v200
	v_fmac_f32_e32 v195, v89, v54
	v_fma_f32 v89, v90, v58, -v202
	v_sub_f32_e32 v212, v81, v102
	v_add_f32_e32 v210, v109, v193
	v_add_f32_e32 v218, v72, v88
	v_dual_sub_f32 v192, v189, v191 :: v_dual_fmac_f32 v197, v103, v60
	v_mul_f32_e32 v203, v90, v59
	v_fma_f32 v103, v77, v50, -v206
	v_fmac_f32_e32 v201, v101, v56
	v_add_f32_e32 v206, v81, v102
	v_dual_sub_f32 v222, v88, v89 :: v_dual_fmac_f32 v207, v78, v50
	v_dual_add_f32 v216, v193, v199 :: v_dual_add_nc_u32 v83, 0xc00, v165
	v_sub_f32_e32 v90, v74, v75
	v_add_f32_e32 v78, v75, v86
	v_sub_f32_e32 v198, v193, v199
	v_dual_fmac_f32 v205, v105, v48 :: v_dual_sub_f32 v226, v94, v103
	v_sub_f32_e32 v200, v195, v197
	v_dual_fmac_f32 v203, v91, v58 :: v_dual_sub_f32 v214, v193, v195
	v_dual_sub_f32 v91, v111, v86 :: v_dual_add_f32 v224, v88, v103
	v_dual_add_f32 v77, v106, v74 :: v_dual_sub_f32 v220, v201, v207
	v_add_f32_e32 v97, v107, v82
	s_delay_alu instid0(VALU_DEP_4)
	v_dual_sub_f32 v99, v82, v191 :: v_dual_add_f32 v228, v203, v205
	v_dual_add_f32 v93, v74, v111 :: v_dual_sub_f32 v230, v89, v94
	v_dual_sub_f32 v95, v75, v74 :: v_dual_add_f32 v232, v201, v207
	v_dual_sub_f32 v101, v74, v111 :: v_dual_add_f32 v194, v108, v81
	;; [unrolled: 1-line block ×3, first 2 shown]
	v_dual_add_f32 v234, v77, v75 :: v_dual_sub_f32 v209, v92, v102
	v_fma_f32 v74, -0.5, v78, v106
	v_add_f32_e32 v219, v89, v94
	v_fma_f32 v81, -0.5, v196, v108
	v_sub_f32_e32 v225, v89, v88
	v_fma_f32 v108, -0.5, v206, v108
	v_sub_f32_e32 v229, v88, v103
	v_sub_f32_e32 v88, v201, v203
	v_add_f32_e32 v235, v90, v91
	v_add_f32_e32 v90, v97, v163
	v_dual_sub_f32 v105, v82, v163 :: v_dual_sub_f32 v82, v163, v82
	v_dual_sub_f32 v100, v163, v189 :: v_dual_sub_f32 v217, v197, v199
	v_sub_f32_e32 v221, v203, v205
	v_fma_f32 v75, -0.5, v98, v107
	v_fma_f32 v78, -0.5, v190, v107
	v_dual_add_f32 v227, v73, v201 :: v_dual_add_f32 v190, v202, v204
	v_add_f32_e32 v98, v234, v86
	v_fmamk_f32 v86, v99, 0x3f737871, v74
	v_fma_f32 v163, -0.5, v219, v72
	v_fma_f32 v72, -0.5, v224, v72
	v_dual_fmac_f32 v74, 0xbf737871, v99 :: v_dual_add_f32 v107, v82, v192
	v_dual_add_f32 v192, v208, v209 :: v_dual_add_f32 v105, v105, v164
	v_fma_f32 v82, -0.5, v211, v109
	v_fma_f32 v164, -0.5, v228, v73
	v_add_f32_e32 v91, v194, v87
	v_add_f32_e32 v189, v90, v189
	v_dual_fmamk_f32 v90, v198, 0x3f737871, v81 :: v_dual_sub_f32 v215, v199, v197
	v_dual_add_f32 v196, v225, v226 :: v_dual_sub_f32 v231, v207, v205
	v_fma_f32 v77, -0.5, v93, v106
	s_delay_alu instid0(VALU_DEP_3)
	v_dual_sub_f32 v213, v87, v92 :: v_dual_add_f32 v194, v214, v215
	v_sub_f32_e32 v201, v203, v201
	v_dual_add_f32 v106, v95, v96 :: v_dual_add_f32 v95, v218, v89
	v_fmamk_f32 v89, v104, 0x3f737871, v78
	v_dual_fmac_f32 v78, 0xbf737871, v104 :: v_dual_add_f32 v97, v227, v203
	v_fmac_f32_e32 v90, 0x3f167918, v200
	v_add_f32_e32 v203, v91, v92
	v_fmamk_f32 v91, v212, 0xbf737871, v82
	v_dual_fmac_f32 v82, 0x3f737871, v212 :: v_dual_sub_f32 v223, v103, v94
	v_dual_fmamk_f32 v92, v200, 0xbf737871, v108 :: v_dual_sub_f32 v193, v195, v193
	v_add_f32_e32 v202, v88, v231
	v_fmamk_f32 v88, v100, 0xbf737871, v77
	s_delay_alu instid0(VALU_DEP_4)
	v_dual_fmac_f32 v82, 0x3f167918, v213 :: v_dual_fmac_f32 v73, -0.5, v232
	v_dual_add_f32 v93, v210, v195 :: v_dual_fmac_f32 v86, 0x3f167918, v100
	v_dual_fmac_f32 v109, -0.5, v216 :: v_dual_add_f32 v98, v98, v111
	v_fmamk_f32 v87, v101, 0xbf737871, v75
	v_fmac_f32_e32 v75, 0x3f737871, v101
	v_fmac_f32_e32 v88, 0x3f167918, v99
	v_dual_sub_f32 v233, v205, v207 :: v_dual_add_f32 v204, v95, v94
	v_fmac_f32_e32 v77, 0x3f737871, v100
	v_dual_add_f32 v193, v193, v217 :: v_dual_fmac_f32 v74, 0xbf167918, v100
	v_fmac_f32_e32 v81, 0xbf737871, v198
	v_fmac_f32_e32 v108, 0x3f737871, v200
	v_fmamk_f32 v94, v220, 0x3f737871, v163
	v_fmamk_f32 v96, v221, 0xbf737871, v72
	v_fmac_f32_e32 v72, 0x3f737871, v221
	v_add_f32_e32 v205, v97, v205
	v_dual_fmamk_f32 v95, v229, 0xbf737871, v164 :: v_dual_add_f32 v100, v203, v102
	v_fmamk_f32 v97, v230, 0x3f737871, v73
	v_fmac_f32_e32 v73, 0xbf737871, v230
	v_dual_add_f32 v197, v93, v197 :: v_dual_fmac_f32 v96, 0x3f167918, v220
	v_fmamk_f32 v93, v213, 0x3f737871, v109
	v_fmac_f32_e32 v109, 0xbf737871, v213
	v_fmac_f32_e32 v163, 0xbf737871, v220
	;; [unrolled: 1-line block ×5, first 2 shown]
	v_dual_add_f32 v195, v222, v223 :: v_dual_fmac_f32 v78, 0x3f167918, v101
	s_delay_alu instid0(VALU_DEP_4)
	v_dual_fmac_f32 v75, 0x3f167918, v104 :: v_dual_fmac_f32 v164, 0x3f167918, v230
	v_add_f32_e32 v102, v204, v103
	v_fmac_f32_e32 v77, 0xbf167918, v99
	v_dual_add_f32 v201, v201, v233 :: v_dual_fmac_f32 v92, 0x3f167918, v198
	v_dual_fmac_f32 v81, 0xbf167918, v200 :: v_dual_fmac_f32 v108, 0xbf167918, v198
	v_dual_add_f32 v99, v189, v191 :: v_dual_fmac_f32 v94, 0x3f167918, v221
	v_fmac_f32_e32 v91, 0xbf167918, v213
	v_fmac_f32_e32 v95, 0xbf167918, v230
	;; [unrolled: 1-line block ×3, first 2 shown]
	v_dual_add_f32 v101, v197, v199 :: v_dual_fmac_f32 v88, 0x3e9e377a, v106
	v_fmac_f32_e32 v93, 0xbf167918, v212
	v_fmac_f32_e32 v109, 0x3f167918, v212
	v_dual_fmac_f32 v163, 0xbf167918, v221 :: v_dual_fmac_f32 v72, 0xbf167918, v220
	v_fmac_f32_e32 v97, 0xbf167918, v229
	v_dual_fmac_f32 v86, 0x3e9e377a, v235 :: v_dual_fmac_f32 v77, 0x3e9e377a, v106
	v_dual_fmac_f32 v74, 0x3e9e377a, v235 :: v_dual_fmac_f32 v87, 0x3e9e377a, v105
	;; [unrolled: 1-line block ×4, first 2 shown]
	v_dual_add_f32 v103, v205, v207 :: v_dual_fmac_f32 v90, 0x3e9e377a, v190
	v_dual_fmac_f32 v81, 0x3e9e377a, v190 :: v_dual_fmac_f32 v108, 0x3e9e377a, v192
	v_dual_fmac_f32 v91, 0x3e9e377a, v194 :: v_dual_fmac_f32 v94, 0x3e9e377a, v195
	v_dual_fmac_f32 v82, 0x3e9e377a, v194 :: v_dual_fmac_f32 v93, 0x3e9e377a, v193
	v_fmac_f32_e32 v95, 0x3e9e377a, v202
	v_fmac_f32_e32 v73, 0x3e9e377a, v201
	v_dual_fmac_f32 v109, 0x3e9e377a, v193 :: v_dual_fmac_f32 v96, 0x3e9e377a, v196
	v_dual_fmac_f32 v163, 0x3e9e377a, v195 :: v_dual_fmac_f32 v72, 0x3e9e377a, v196
	;; [unrolled: 1-line block ×3, first 2 shown]
	ds_store_2addr_b64 v79, v[86:87], v[88:89] offset0:12 offset1:216
	ds_store_2addr_b64 v110, v[77:78], v[74:75] offset0:36 offset1:240
	ds_store_2addr_b64 v165, v[98:99], v[100:101] offset1:68
	ds_store_b64 v165, v[102:103] offset:1088
	ds_store_2addr_b64 v84, v[90:91], v[94:95] offset0:16 offset1:84
	ds_store_2addr_b64 v83, v[92:93], v[96:97] offset0:92 offset1:160
	;; [unrolled: 1-line block ×4, first 2 shown]
	global_wb scope:SCOPE_SE
	s_wait_dscnt 0x0
	s_barrier_signal -1
	s_barrier_wait -1
	global_inv scope:SCOPE_SE
	s_clause 0xd
	global_load_b64 v[73:74], v[112:113], off offset:8160
	global_load_b64 v[77:78], v76, s[2:3] offset:4080
	global_load_b64 v[81:82], v76, s[2:3] offset:544
	;; [unrolled: 1-line block ×13, first 2 shown]
	ds_load_2addr_b64 v[86:89], v165 offset1:68
	ds_load_2addr_b64 v[90:93], v84 offset0:152 offset1:254
	ds_load_2addr_b64 v[94:97], v80 offset0:66 offset1:134
	;; [unrolled: 1-line block ×3, first 2 shown]
	s_wait_loadcnt_dscnt 0xd03
	v_dual_mul_f32 v75, v86, v74 :: v_dual_add_nc_u32 v72, 0x1400, v165
	ds_load_2addr_b64 v[102:105], v72 offset0:74 offset1:142
	ds_load_2addr_b64 v[106:109], v84 offset0:16 offset1:84
	;; [unrolled: 1-line block ×3, first 2 shown]
	v_mul_f32_e32 v214, v87, v74
	s_wait_loadcnt 0xb
	v_mul_f32_e32 v216, v89, v82
	v_mul_f32_e32 v83, v88, v82
	s_wait_loadcnt_dscnt 0xa04
	v_mul_f32_e32 v217, v95, v111
	s_wait_loadcnt_dscnt 0x903
	v_dual_mul_f32 v213, v94, v111 :: v_dual_mul_f32 v218, v99, v194
	v_mul_f32_e32 v111, v98, v194
	s_wait_loadcnt 0x8
	v_mul_f32_e32 v219, v97, v196
	v_mul_f32_e32 v194, v96, v196
	s_wait_loadcnt 0x7
	v_mul_f32_e32 v220, v101, v198
	v_mul_f32_e32 v196, v100, v198
	;; [unrolled: 1-line block ×3, first 2 shown]
	s_wait_loadcnt 0x1
	v_mul_f32_e32 v226, v91, v210
	v_fma_f32 v74, v86, v73, -v214
	v_fmac_f32_e32 v75, v87, v73
	v_fma_f32 v82, v88, v81, -v216
	v_fmac_f32_e32 v83, v89, v81
	s_wait_dscnt 0x2
	v_mul_f32_e32 v221, v103, v200
	v_mul_f32_e32 v198, v102, v200
	s_wait_dscnt 0x1
	v_mul_f32_e32 v222, v107, v202
	v_dual_mul_f32 v200, v106, v202 :: v_dual_mul_f32 v223, v105, v204
	v_mul_f32_e32 v202, v104, v204
	v_mul_f32_e32 v224, v109, v206
	s_wait_dscnt 0x0
	v_dual_mul_f32 v204, v108, v206 :: v_dual_mul_f32 v225, v190, v208
	v_mul_f32_e32 v206, v189, v208
	v_mul_f32_e32 v208, v90, v210
	;; [unrolled: 1-line block ×3, first 2 shown]
	s_wait_loadcnt 0x0
	v_mul_f32_e32 v227, v192, v212
	v_mul_f32_e32 v210, v191, v212
	v_fma_f32 v212, v94, v110, -v217
	v_fmac_f32_e32 v208, v91, v209
	v_fmac_f32_e32 v213, v95, v110
	v_fma_f32 v110, v98, v193, -v218
	v_fmac_f32_e32 v111, v99, v193
	v_fma_f32 v193, v96, v195, -v219
	;; [unrolled: 2-line block ×10, first 2 shown]
	v_fma_f32 v209, v191, v211, -v227
	v_fmac_f32_e32 v210, v192, v211
	ds_store_2addr_b64 v165, v[74:75], v[82:83] offset1:68
	ds_store_2addr_b64 v80, v[212:213], v[193:194] offset0:66 offset1:134
	ds_store_2addr_b64 v165, v[110:111], v[195:196] offset0:136 offset1:204
	;; [unrolled: 1-line block ×6, first 2 shown]
	s_and_saveexec_b32 s1, vcc_lo
	s_cbranch_execz .LBB0_17
; %bb.16:
	s_wait_alu 0xfffe
	v_add_co_u32 v73, s2, s2, v76
	s_wait_alu 0xf1ff
	v_add_co_ci_u32_e64 v74, null, s3, 0, s2
	s_clause 0x1
	global_load_b64 v[75:76], v[73:74], off offset:3808
	global_load_b64 v[73:74], v[73:74], off offset:7888
	ds_load_b64 v[77:78], v165 offset:3808
	ds_load_b64 v[81:82], v165 offset:7888
	s_wait_loadcnt_dscnt 0x101
	v_mul_f32_e32 v79, v78, v76
	v_mul_f32_e32 v87, v77, v76
	s_wait_loadcnt_dscnt 0x0
	v_mul_f32_e32 v76, v81, v74
	v_mul_f32_e32 v83, v82, v74
	v_fma_f32 v86, v77, v75, -v79
	s_delay_alu instid0(VALU_DEP_3) | instskip(SKIP_1) | instid1(VALU_DEP_4)
	v_fmac_f32_e32 v76, v82, v73
	v_fmac_f32_e32 v87, v78, v75
	v_fma_f32 v75, v81, v73, -v83
	ds_store_b64 v165, v[86:87] offset:3808
	ds_store_b64 v165, v[75:76] offset:7888
.LBB0_17:
	s_wait_alu 0xfffe
	s_or_b32 exec_lo, exec_lo, s1
	global_wb scope:SCOPE_SE
	s_wait_dscnt 0x0
	s_barrier_signal -1
	s_barrier_wait -1
	global_inv scope:SCOPE_SE
	ds_load_2addr_b64 v[91:94], v165 offset1:68
	ds_load_2addr_b64 v[76:79], v84 offset0:152 offset1:254
	ds_load_2addr_b64 v[86:89], v80 offset0:66 offset1:134
	;; [unrolled: 1-line block ×6, first 2 shown]
	s_and_saveexec_b32 s1, vcc_lo
	s_cbranch_execz .LBB0_19
; %bb.18:
	ds_load_b64 v[163:164], v165 offset:3808
	ds_load_b64 v[161:162], v165 offset:7888
.LBB0_19:
	s_wait_alu 0xfffe
	s_or_b32 exec_lo, exec_lo, s1
	s_wait_dscnt 0x5
	v_dual_sub_f32 v74, v91, v78 :: v_dual_sub_f32 v75, v92, v79
	s_wait_dscnt 0x4
	v_dual_sub_f32 v86, v93, v86 :: v_dual_sub_f32 v87, v94, v87
	;; [unrolled: 2-line block ×3, first 2 shown]
	v_sub_f32_e32 v90, v80, v88
	v_fma_f32 v72, v91, 2.0, -v74
	v_sub_f32_e32 v91, v81, v89
	v_fma_f32 v85, v94, 2.0, -v87
	s_wait_dscnt 0x1
	v_dual_sub_f32 v98, v104, v98 :: v_dual_sub_f32 v99, v105, v99
	v_fma_f32 v100, v82, 2.0, -v102
	s_wait_dscnt 0x0
	v_dual_sub_f32 v94, v106, v108 :: v_dual_sub_f32 v95, v107, v109
	v_fma_f32 v101, v83, 2.0, -v103
	v_dual_sub_f32 v82, v76, v110 :: v_dual_sub_f32 v83, v77, v111
	v_dual_sub_f32 v78, v163, v161 :: v_dual_sub_f32 v79, v164, v162
	v_fma_f32 v73, v92, 2.0, -v75
	v_fma_f32 v84, v93, 2.0, -v86
	;; [unrolled: 1-line block ×12, first 2 shown]
	global_wb scope:SCOPE_SE
	s_barrier_signal -1
	s_barrier_wait -1
	global_inv scope:SCOPE_SE
	ds_store_b128 v169, v[72:75]
	ds_store_b128 v170, v[84:87]
	;; [unrolled: 1-line block ×7, first 2 shown]
	s_and_saveexec_b32 s1, vcc_lo
	s_cbranch_execz .LBB0_21
; %bb.20:
	ds_store_b128 v172, v[76:79]
.LBB0_21:
	s_wait_alu 0xfffe
	s_or_b32 exec_lo, exec_lo, s1
	global_wb scope:SCOPE_SE
	s_wait_dscnt 0x0
	s_barrier_signal -1
	s_barrier_wait -1
	global_inv scope:SCOPE_SE
	s_and_saveexec_b32 s1, s0
	s_cbranch_execz .LBB0_23
; %bb.22:
	v_add_nc_u32_e32 v76, 0x400, v165
	v_add_nc_u32_e32 v77, 0x800, v165
	;; [unrolled: 1-line block ×3, first 2 shown]
	ds_load_2addr_b64 v[72:75], v165 offset1:60
	ds_load_2addr_b64 v[84:87], v165 offset0:120 offset1:180
	v_add_nc_u32_e32 v79, 0x1400, v165
	ds_load_2addr_b64 v[88:91], v76 offset0:112 offset1:172
	v_add_nc_u32_e32 v76, 0x1000, v165
	v_add_nc_u32_e32 v104, 0x1800, v165
	ds_load_2addr_b64 v[100:103], v77 offset0:104 offset1:164
	ds_load_2addr_b64 v[96:99], v78 offset0:96 offset1:156
	;; [unrolled: 1-line block ×5, first 2 shown]
	ds_load_b64 v[159:160], v165 offset:7680
.LBB0_23:
	s_wait_alu 0xfffe
	s_or_b32 exec_lo, exec_lo, s1
	s_wait_dscnt 0x7
	v_dual_mul_f32 v197, v29, v75 :: v_dual_mul_f32 v104, v31, v85
	v_mul_f32_e32 v29, v29, v74
	v_mul_f32_e32 v31, v31, v84
	global_wb scope:SCOPE_SE
	s_wait_dscnt 0x0
	v_dual_fmac_f32 v197, v28, v74 :: v_dual_mul_f32 v74, v21, v87
	v_fmac_f32_e32 v104, v30, v84
	v_fma_f32 v200, v28, v75, -v29
	v_dual_mul_f32 v28, v21, v86 :: v_dual_mul_f32 v21, v23, v89
	s_delay_alu instid0(VALU_DEP_4) | instskip(SKIP_1) | instid1(VALU_DEP_3)
	v_dual_fmac_f32 v74, v20, v86 :: v_dual_mul_f32 v29, v23, v88
	v_mul_f32_e32 v23, v17, v91
	v_fma_f32 v20, v20, v87, -v28
	s_delay_alu instid0(VALU_DEP_4) | instskip(NEXT) | instid1(VALU_DEP_4)
	v_dual_fmac_f32 v21, v22, v88 :: v_dual_mul_f32 v28, v17, v90
	v_fma_f32 v22, v22, v89, -v29
	s_delay_alu instid0(VALU_DEP_4)
	v_fmac_f32_e32 v23, v16, v90
	v_mul_f32_e32 v17, v19, v101
	v_mul_f32_e32 v29, v19, v100
	v_fma_f32 v19, v16, v91, -v28
	v_mul_f32_e32 v16, v9, v103
	v_dual_mul_f32 v28, v9, v102 :: v_dual_mul_f32 v9, v11, v97
	v_dual_fmac_f32 v17, v18, v100 :: v_dual_mul_f32 v86, v5, v83
	s_delay_alu instid0(VALU_DEP_3) | instskip(NEXT) | instid1(VALU_DEP_3)
	v_fmac_f32_e32 v16, v8, v102
	v_fma_f32 v84, v8, v103, -v28
	v_dual_mul_f32 v8, v11, v96 :: v_dual_mul_f32 v11, v25, v99
	v_dual_mul_f32 v28, v25, v98 :: v_dual_mul_f32 v25, v27, v93
	v_fmac_f32_e32 v86, v4, v82
	s_delay_alu instid0(VALU_DEP_3) | instskip(NEXT) | instid1(VALU_DEP_4)
	v_fma_f32 v190, v10, v97, -v8
	v_dual_mul_f32 v8, v27, v92 :: v_dual_fmac_f32 v11, v24, v98
	s_delay_alu instid0(VALU_DEP_4) | instskip(SKIP_2) | instid1(VALU_DEP_4)
	v_fma_f32 v27, v24, v99, -v28
	v_dual_mul_f32 v24, v13, v95 :: v_dual_fmac_f32 v9, v10, v96
	v_dual_mul_f32 v10, v13, v94 :: v_dual_fmac_f32 v25, v26, v92
	v_fma_f32 v26, v26, v93, -v8
	v_mul_f32_e32 v13, v15, v81
	v_mul_f32_e32 v8, v15, v80
	s_delay_alu instid0(VALU_DEP_4) | instskip(SKIP_1) | instid1(VALU_DEP_4)
	v_fma_f32 v193, v12, v95, -v10
	v_dual_mul_f32 v10, v3, v159 :: v_dual_mul_f32 v5, v5, v82
	v_dual_fmac_f32 v13, v14, v80 :: v_dual_mul_f32 v88, v7, v77
	s_delay_alu instid0(VALU_DEP_4) | instskip(SKIP_1) | instid1(VALU_DEP_4)
	v_fma_f32 v87, v14, v81, -v8
	v_mul_f32_e32 v80, v3, v160
	v_fma_f32 v81, v2, v160, -v10
	v_fma_f32 v82, v4, v83, -v5
	v_dual_mul_f32 v4, v1, v78 :: v_dual_mul_f32 v5, v7, v76
	s_delay_alu instid0(VALU_DEP_3) | instskip(SKIP_3) | instid1(VALU_DEP_4)
	v_dual_fmac_f32 v80, v2, v159 :: v_dual_sub_f32 v3, v200, v81
	v_add_f32_e32 v201, v81, v200
	v_fma_f32 v230, v30, v85, -v31
	v_dual_fmac_f32 v88, v6, v76 :: v_dual_mul_f32 v83, v1, v79
	v_add_f32_e32 v2, v80, v197
	v_dual_mul_f32 v202, 0xbf2c7751, v3 :: v_dual_sub_f32 v1, v197, v80
	v_fma_f32 v79, v0, v79, -v4
	v_fma_f32 v15, v6, v77, -v5
	v_dual_fmac_f32 v83, v0, v78 :: v_dual_mul_f32 v0, 0xbf65296c, v3
	s_delay_alu instid0(VALU_DEP_4) | instskip(SKIP_3) | instid1(VALU_DEP_3)
	v_fma_f32 v4, 0x3f3d2fb0, v2, -v202
	v_mul_f32_e32 v203, 0x3f3d2fb0, v201
	v_dual_sub_f32 v93, v230, v79 :: v_dual_mul_f32 v204, 0x3ee437d1, v201
	v_fmac_f32_e32 v24, v12, v94
	v_dual_add_f32 v6, v72, v4 :: v_dual_fmamk_f32 v5, v1, 0xbf2c7751, v203
	v_add_f32_e32 v4, v83, v104
	s_delay_alu instid0(VALU_DEP_4)
	v_mul_f32_e32 v162, 0xbf7ee86f, v93
	v_add_f32_e32 v94, v79, v230
	v_dual_fmamk_f32 v10, v1, 0xbf65296c, v204 :: v_dual_sub_f32 v95, v20, v15
	v_add_f32_e32 v7, v73, v5
	v_sub_f32_e32 v5, v104, v83
	v_fma_f32 v12, 0x3dbcf732, v4, -v162
	v_dual_add_f32 v96, v15, v20 :: v_dual_sub_f32 v97, v22, v82
	v_mul_f32_e32 v160, 0xbf1a4643, v94
	v_fma_f32 v18, v18, v101, -v29
	v_fma_f32 v8, 0x3ee437d1, v2, -v0
	s_delay_alu instid0(VALU_DEP_4)
	v_mul_f32_e32 v173, 0xbf1a4643, v96
	v_mul_f32_e32 v163, 0x3dbcf732, v94
	v_dual_add_f32 v10, v73, v10 :: v_dual_mul_f32 v159, 0xbf4c4adb, v93
	v_dual_add_f32 v12, v12, v6 :: v_dual_fmamk_f32 v29, v5, 0xbf4c4adb, v160
	v_dual_add_f32 v6, v88, v74 :: v_dual_mul_f32 v171, 0xbf7ba420, v96
	v_mul_f32_e32 v172, 0xbf4c4adb, v95
	s_delay_alu instid0(VALU_DEP_3) | instskip(SKIP_2) | instid1(VALU_DEP_4)
	v_dual_add_f32 v8, v72, v8 :: v_dual_add_f32 v29, v29, v10
	v_fmamk_f32 v14, v5, 0xbf7ee86f, v163
	v_fma_f32 v28, 0xbf1a4643, v4, -v159
	v_fma_f32 v30, 0xbf1a4643, v6, -v172
	v_dual_sub_f32 v101, v19, v87 :: v_dual_mul_f32 v174, 0xbe3c28d5, v97
	v_add_f32_e32 v105, v87, v19
	v_add_f32_e32 v14, v14, v7
	v_sub_f32_e32 v7, v74, v88
	v_add_f32_e32 v12, v30, v12
	v_dual_add_f32 v100, v82, v22 :: v_dual_mul_f32 v189, 0x3f06c442, v101
	v_mul_f32_e32 v85, 0xbf59a7d5, v105
	s_delay_alu instid0(VALU_DEP_4) | instskip(NEXT) | instid1(VALU_DEP_3)
	v_dual_fmamk_f32 v31, v7, 0x3e3c28d5, v171 :: v_dual_add_f32 v28, v28, v8
	v_dual_add_f32 v8, v86, v21 :: v_dual_mul_f32 v175, 0xbe8c1d8e, v100
	v_mul_f32_e32 v89, 0x3f763a35, v97
	s_delay_alu instid0(VALU_DEP_3) | instskip(SKIP_1) | instid1(VALU_DEP_4)
	v_add_f32_e32 v29, v31, v29
	v_sub_f32_e32 v107, v18, v193
	v_fma_f32 v76, 0xbf7ba420, v8, -v174
	v_fmamk_f32 v10, v7, 0xbf4c4adb, v173
	v_fma_f32 v77, 0xbe8c1d8e, v8, -v89
	v_dual_mul_f32 v196, 0x3f2c7751, v101 :: v_dual_add_f32 v161, v26, v84
	s_delay_alu instid0(VALU_DEP_3) | instskip(SKIP_2) | instid1(VALU_DEP_4)
	v_dual_add_f32 v31, v76, v12 :: v_dual_add_f32 v30, v10, v14
	v_sub_f32_e32 v10, v21, v86
	v_add_f32_e32 v12, v13, v23
	v_dual_add_f32 v108, v193, v18 :: v_dual_mul_f32 v195, 0x3ee437d1, v161
	v_mul_f32_e32 v198, 0x3f3d2fb0, v105
	s_delay_alu instid0(VALU_DEP_4)
	v_fmamk_f32 v78, v10, 0x3f763a35, v175
	v_mul_f32_e32 v164, 0x3e3c28d5, v95
	v_fma_f32 v90, 0xbf59a7d5, v12, -v189
	v_mul_f32_e32 v176, 0xbf7ba420, v100
	v_mul_f32_e32 v191, 0x3f763a35, v107
	v_add_f32_e32 v29, v78, v29
	v_fma_f32 v14, 0xbf7ba420, v6, -v164
	v_add_f32_e32 v31, v90, v31
	v_fmamk_f32 v76, v10, 0xbe3c28d5, v176
	v_mul_f32_e32 v99, 0x3f6eb680, v108
	v_fma_f32 v90, 0x3f3d2fb0, v12, -v196
	v_dual_add_f32 v28, v14, v28 :: v_dual_mul_f32 v199, 0xbeb8f4ab, v107
	v_dual_sub_f32 v111, v84, v26 :: v_dual_mul_f32 v102, 0x3dbcf732, v161
	s_barrier_signal -1
	s_delay_alu instid0(VALU_DEP_2) | instskip(SKIP_3) | instid1(VALU_DEP_3)
	v_add_f32_e32 v28, v77, v28
	v_dual_sub_f32 v77, v17, v24 :: v_dual_add_f32 v30, v76, v30
	v_add_f32_e32 v76, v24, v17
	s_barrier_wait -1
	v_add_f32_e32 v28, v90, v28
	v_sub_f32_e32 v90, v16, v25
	v_mul_f32_e32 v194, 0x3f65296c, v111
	v_fma_f32 v92, 0xbe8c1d8e, v76, -v191
	v_sub_f32_e32 v14, v23, v13
	global_inv scope:SCOPE_SE
	v_add_f32_e32 v31, v92, v31
	v_fmamk_f32 v91, v14, 0x3f2c7751, v198
	v_fmamk_f32 v78, v14, 0x3f06c442, v85
	s_delay_alu instid0(VALU_DEP_2) | instskip(SKIP_2) | instid1(VALU_DEP_3)
	v_dual_fmamk_f32 v92, v77, 0xbeb8f4ab, v99 :: v_dual_add_f32 v29, v91, v29
	v_mul_f32_e32 v192, 0xbe8c1d8e, v108
	v_fma_f32 v91, 0x3f6eb680, v76, -v199
	v_dual_add_f32 v30, v78, v30 :: v_dual_add_f32 v29, v92, v29
	v_mul_f32_e32 v98, 0xbf7ee86f, v111
	s_delay_alu instid0(VALU_DEP_3) | instskip(SKIP_2) | instid1(VALU_DEP_2)
	v_dual_add_f32 v28, v91, v28 :: v_dual_fmamk_f32 v91, v90, 0x3f65296c, v195
	v_fmamk_f32 v78, v77, 0x3f763a35, v192
	v_sub_f32_e32 v92, v9, v11
	v_add_f32_e32 v30, v78, v30
	s_delay_alu instid0(VALU_DEP_1) | instskip(NEXT) | instid1(VALU_DEP_1)
	v_dual_add_f32 v78, v25, v16 :: v_dual_add_f32 v205, v91, v30
	v_fma_f32 v169, 0x3ee437d1, v78, -v194
	v_add_f32_e32 v91, v11, v9
	s_delay_alu instid0(VALU_DEP_2) | instskip(SKIP_2) | instid1(VALU_DEP_2)
	v_add_f32_e32 v31, v169, v31
	v_sub_f32_e32 v169, v190, v27
	v_fma_f32 v170, 0x3dbcf732, v78, -v98
	v_mul_f32_e32 v106, 0x3eb8f4ab, v169
	s_delay_alu instid0(VALU_DEP_2) | instskip(SKIP_1) | instid1(VALU_DEP_1)
	v_add_f32_e32 v28, v170, v28
	v_dual_add_f32 v170, v27, v190 :: v_dual_mul_f32 v103, 0xbf06c442, v169
	v_mul_f32_e32 v110, 0x3f6eb680, v170
	v_mul_f32_e32 v109, 0xbf59a7d5, v170
	v_fmamk_f32 v30, v90, 0xbf7ee86f, v102
	s_delay_alu instid0(VALU_DEP_4) | instskip(NEXT) | instid1(VALU_DEP_4)
	v_fma_f32 v207, 0xbf59a7d5, v91, -v103
	v_fmamk_f32 v206, v92, 0x3eb8f4ab, v110
	s_delay_alu instid0(VALU_DEP_3) | instskip(SKIP_1) | instid1(VALU_DEP_2)
	v_dual_fmamk_f32 v208, v92, 0xbf06c442, v109 :: v_dual_add_f32 v29, v30, v29
	v_fma_f32 v30, 0x3f6eb680, v91, -v106
	v_dual_add_f32 v28, v207, v28 :: v_dual_add_f32 v29, v208, v29
	s_delay_alu instid0(VALU_DEP_2)
	v_add_f32_e32 v30, v30, v31
	v_add_f32_e32 v31, v206, v205
	s_and_saveexec_b32 s1, s0
	s_cbranch_execz .LBB0_25
; %bb.24:
	v_mul_f32_e32 v217, 0xbf763a35, v3
	v_mul_f32_e32 v220, 0xbf4c4adb, v3
	;; [unrolled: 1-line block ×5, first 2 shown]
	v_fma_f32 v218, 0xbe8c1d8e, v2, -v217
	v_mul_f32_e32 v205, 0xbf65296c, v1
	v_fmamk_f32 v223, v2, 0xbf1a4643, v220
	v_fmamk_f32 v224, v2, 0x3dbcf732, v221
	;; [unrolled: 1-line block ×3, first 2 shown]
	v_fma_f32 v221, 0x3dbcf732, v2, -v221
	v_dual_sub_f32 v204, v204, v205 :: v_dual_mul_f32 v205, 0x3ee437d1, v2
	v_dual_add_f32 v231, v200, v73 :: v_dual_mul_f32 v232, 0x3f2c7751, v7
	v_mul_f32_e32 v233, 0xbf65296c, v10
	s_delay_alu instid0(VALU_DEP_3)
	v_dual_mul_f32 v237, 0xbeb8f4ab, v90 :: v_dual_add_f32 v0, v205, v0
	v_mul_f32_e32 v205, 0xbf2c7751, v1
	v_mul_f32_e32 v238, 0xbf65296c, v97
	;; [unrolled: 1-line block ×5, first 2 shown]
	v_sub_f32_e32 v203, v203, v205
	v_dual_mul_f32 v205, 0x3f3d2fb0, v2 :: v_dual_add_f32 v224, v72, v224
	v_mul_f32_e32 v245, 0xbf7ee86f, v95
	v_mul_f32_e32 v246, 0x3f2c7751, v90
	s_delay_alu instid0(VALU_DEP_3) | instskip(SKIP_3) | instid1(VALU_DEP_3)
	v_dual_mul_f32 v247, 0x3f4c4adb, v97 :: v_dual_add_f32 v202, v205, v202
	v_mul_f32_e32 v205, 0xbf06c442, v1
	v_dual_add_f32 v223, v72, v223 :: v_dual_fmamk_f32 v214, v1, 0x3f7ee86f, v211
	v_fmac_f32_e32 v211, 0xbf7ee86f, v1
	v_dual_add_f32 v229, v72, v202 :: v_dual_fmamk_f32 v206, v201, 0xbf59a7d5, v205
	v_mul_f32_e32 v202, 0x3f65296c, v5
	v_mul_f32_e32 v250, 0x3f2c7751, v111
	v_dual_mul_f32 v251, 0xbf763a35, v92 :: v_dual_mul_f32 v252, 0xbf763a35, v169
	s_delay_alu instid0(VALU_DEP_4)
	v_add_f32_e32 v206, v73, v206
	v_fma_f32 v205, 0xbf59a7d5, v201, -v205
	v_mul_f32_e32 v235, 0x3f06c442, v93
	v_mul_f32_e32 v253, 0x3f6eb680, v94
	;; [unrolled: 1-line block ×3, first 2 shown]
	v_add_f32_e32 v227, v72, v0
	v_add_f32_e32 v205, v73, v205
	v_fma_f32 v220, 0xbf1a4643, v2, -v220
	v_mul_f32_e32 v219, 0xbe3c28d5, v3
	v_dual_mul_f32 v209, 0xbf7ba420, v201 :: v_dual_add_f32 v214, v73, v214
	v_add_f32_e32 v226, v73, v204
	v_add_f32_e32 v228, v73, v203
	s_delay_alu instid0(VALU_DEP_4) | instskip(NEXT) | instid1(VALU_DEP_4)
	v_fmamk_f32 v222, v2, 0xbf7ba420, v219
	v_fmamk_f32 v212, v1, 0x3e3c28d5, v209
	v_mul_f32_e32 v207, 0xbf763a35, v1
	v_fmac_f32_e32 v209, 0xbe3c28d5, v1
	v_fma_f32 v219, 0xbf7ba420, v2, -v219
	s_delay_alu instid0(VALU_DEP_4) | instskip(NEXT) | instid1(VALU_DEP_4)
	v_dual_fmac_f32 v217, 0xbe8c1d8e, v2 :: v_dual_add_f32 v212, v73, v212
	v_fmamk_f32 v208, v201, 0xbe8c1d8e, v207
	v_fma_f32 v207, 0xbe8c1d8e, v201, -v207
	v_mul_f32_e32 v201, 0x3f6eb680, v201
	s_delay_alu instid0(VALU_DEP_4)
	v_add_f32_e32 v217, v72, v217
	v_fmac_f32_e32 v210, 0xbf4c4adb, v1
	v_add_f32_e32 v0, v73, v209
	v_mul_f32_e32 v209, 0x3f06c442, v5
	v_fmamk_f32 v215, v1, 0x3eb8f4ab, v201
	v_fmac_f32_e32 v201, 0xbeb8f4ab, v1
	v_mul_f32_e32 v1, 0xbf06c442, v3
	v_mul_f32_e32 v3, 0xbeb8f4ab, v3
	scratch_store_b32 off, v0, off offset:32 ; 4-byte Folded Spill
	v_add_f32_e32 v0, v72, v219
	v_add_f32_e32 v207, v73, v207
	v_fma_f32 v216, 0xbf59a7d5, v2, -v1
	v_fmac_f32_e32 v1, 0xbf59a7d5, v2
	v_fmamk_f32 v225, v2, 0x3f6eb680, v3
	v_fma_f32 v2, 0x3f6eb680, v2, -v3
	v_add_f32_e32 v3, v73, v208
	scratch_store_b32 off, v0, off offset:28 ; 4-byte Folded Spill
	v_add_f32_e32 v0, v73, v210
	v_add_f32_e32 v208, v72, v218
	;; [unrolled: 1-line block ×5, first 2 shown]
	scratch_store_b32 off, v0, off offset:24 ; 4-byte Folded Spill
	v_add_f32_e32 v0, v72, v220
	v_fmamk_f32 v1, v96, 0x3f3d2fb0, v232
	v_dual_add_f32 v216, v72, v216 :: v_dual_mul_f32 v203, 0xbf7ee86f, v7
	v_mul_f32_e32 v248, 0xbeb8f4ab, v101
	scratch_store_b32 off, v0, off offset:20 ; 4-byte Folded Spill
	v_add_f32_e32 v0, v73, v211
	v_dual_mov_b32 v219, v177 :: v_dual_mov_b32 v220, v187
	v_mul_f32_e32 v234, 0xbe3c28d5, v14
	s_clause 0x1
	scratch_store_b32 off, v186, off
	scratch_store_b32 off, v0, off offset:16
	v_add_f32_e32 v0, v72, v221
	v_dual_mov_b32 v221, v168 :: v_dual_mul_f32 v240, 0x3f7ee86f, v107
	v_mul_f32_e32 v242, 0xbf4c4adb, v92
	v_mul_f32_e32 v204, 0x3f4c4adb, v10
	scratch_store_b32 off, v0, off offset:12 ; 4-byte Folded Spill
	v_dual_add_f32 v0, v73, v201 :: v_dual_mul_f32 v249, 0xbe3c28d5, v107
	v_mov_b32_e32 v211, v179
	v_mul_f32_e32 v179, 0x3f2c7751, v97
	v_mul_f32_e32 v254, 0x3f3d2fb0, v100
	scratch_store_b32 off, v0, off offset:8 ; 4-byte Folded Spill
	v_add_f32_e32 v0, v72, v2
	scratch_store_b32 off, v15, off offset:36 ; 4-byte Folded Spill
	v_mov_b32_e32 v210, v188
	v_mov_b32_e32 v188, v178
	v_mul_f32_e32 v178, 0xbf06c442, v95
	scratch_store_b32 off, v0, off offset:4 ; 4-byte Folded Spill
	v_fmamk_f32 v0, v94, 0xbf59a7d5, v209
	v_dual_mov_b32 v15, v18 :: v_dual_mov_b32 v18, v19
	v_add_f32_e32 v75, v73, v215
	v_mov_b32_e32 v215, v180
	s_delay_alu instid0(VALU_DEP_4) | instskip(SKIP_3) | instid1(VALU_DEP_4)
	v_add_f32_e32 v0, v0, v3
	v_add_f32_e32 v19, v72, v197
	v_fmamk_f32 v3, v96, 0x3dbcf732, v203
	v_mul_f32_e32 v239, 0xbe3c28d5, v101
	v_dual_mov_b32 v73, v183 :: v_dual_add_f32 v0, v1, v0
	v_fmamk_f32 v1, v100, 0x3ee437d1, v233
	v_add_f32_e32 v225, v72, v225
	v_mul_f32_e32 v183, 0xbf763a35, v111
	v_mul_f32_e32 v180, 0xbe8c1d8e, v161
	v_mov_b32_e32 v72, v185
	v_add_f32_e32 v0, v1, v0
	v_dual_fmamk_f32 v1, v105, 0xbf7ba420, v234 :: v_dual_mov_b32 v186, v182
	v_mov_b32_e32 v187, v181
	v_dual_mov_b32 v197, v184 :: v_dual_mul_f32 v184, 0x3dbcf732, v170
	s_delay_alu instid0(VALU_DEP_3) | instskip(SKIP_1) | instid1(VALU_DEP_1)
	v_add_f32_e32 v0, v1, v0
	v_fma_f32 v1, 0xbf59a7d5, v4, -v235
	v_dual_add_f32 v104, v104, v19 :: v_dual_add_f32 v1, v1, v208
	v_mul_f32_e32 v208, 0x3f7ee86f, v77
	v_mul_f32_e32 v236, 0x3f2c7751, v95
	s_delay_alu instid0(VALU_DEP_3) | instskip(NEXT) | instid1(VALU_DEP_3)
	v_add_f32_e32 v74, v74, v104
	v_fmamk_f32 v2, v108, 0x3dbcf732, v208
	v_fma_f32 v208, 0x3dbcf732, v108, -v208
	s_delay_alu instid0(VALU_DEP_2) | instskip(SKIP_1) | instid1(VALU_DEP_1)
	v_dual_add_f32 v21, v21, v74 :: v_dual_add_f32 v0, v2, v0
	v_fma_f32 v2, 0x3f3d2fb0, v6, -v236
	v_dual_add_f32 v1, v2, v1 :: v_dual_fmamk_f32 v2, v161, 0x3f6eb680, v237
	v_fmac_f32_e32 v236, 0x3f3d2fb0, v6
	s_delay_alu instid0(VALU_DEP_2) | instskip(SKIP_1) | instid1(VALU_DEP_1)
	v_add_f32_e32 v0, v2, v0
	v_fma_f32 v2, 0x3ee437d1, v8, -v238
	v_add_f32_e32 v1, v2, v1
	v_fma_f32 v2, 0xbf7ba420, v12, -v239
	s_delay_alu instid0(VALU_DEP_1) | instskip(SKIP_1) | instid1(VALU_DEP_1)
	v_add_f32_e32 v1, v2, v1
	v_fma_f32 v2, 0x3dbcf732, v76, -v240
	v_dual_fmac_f32 v240, 0x3dbcf732, v76 :: v_dual_add_f32 v1, v2, v1
	v_fma_f32 v2, 0x3f6eb680, v78, -v241
	s_delay_alu instid0(VALU_DEP_1) | instskip(SKIP_1) | instid1(VALU_DEP_1)
	v_add_f32_e32 v2, v2, v1
	v_fmamk_f32 v1, v170, 0xbf1a4643, v242
	v_add_f32_e32 v1, v1, v0
	v_fma_f32 v0, 0xbf1a4643, v91, -v243
	s_delay_alu instid0(VALU_DEP_1) | instskip(SKIP_1) | instid1(VALU_DEP_1)
	v_add_f32_e32 v0, v0, v2
	v_fmamk_f32 v2, v94, 0x3ee437d1, v202
	v_add_f32_e32 v2, v2, v206
	v_mul_f32_e32 v206, 0xbeb8f4ab, v14
	s_delay_alu instid0(VALU_DEP_2) | instskip(SKIP_1) | instid1(VALU_DEP_1)
	v_dual_fmac_f32 v235, 0xbf59a7d5, v4 :: v_dual_add_f32 v2, v3, v2
	v_fmamk_f32 v3, v100, 0xbf1a4643, v204
	v_dual_fmac_f32 v239, 0xbf7ba420, v12 :: v_dual_add_f32 v2, v3, v2
	s_delay_alu instid0(VALU_DEP_4) | instskip(NEXT) | instid1(VALU_DEP_1)
	v_fmamk_f32 v3, v105, 0x3f6eb680, v206
	v_add_f32_e32 v2, v3, v2
	v_fma_f32 v3, 0x3ee437d1, v4, -v244
	s_delay_alu instid0(VALU_DEP_1) | instskip(NEXT) | instid1(VALU_DEP_1)
	v_dual_add_f32 v3, v3, v216 :: v_dual_mul_f32 v216, 0xbe3c28d5, v77
	v_fmamk_f32 v200, v108, 0xbf7ba420, v216
	s_delay_alu instid0(VALU_DEP_1) | instskip(SKIP_3) | instid1(VALU_DEP_3)
	v_add_f32_e32 v2, v200, v2
	v_fma_f32 v200, 0x3dbcf732, v6, -v245
	v_fmac_f32_e32 v243, 0xbf1a4643, v91
	v_fmac_f32_e32 v241, 0x3f6eb680, v78
	v_dual_add_f32 v3, v200, v3 :: v_dual_fmamk_f32 v200, v161, 0x3f3d2fb0, v246
	v_fmac_f32_e32 v238, 0x3ee437d1, v8
	s_delay_alu instid0(VALU_DEP_2) | instskip(SKIP_1) | instid1(VALU_DEP_1)
	v_add_f32_e32 v2, v200, v2
	v_fma_f32 v200, 0xbf1a4643, v8, -v247
	v_add_f32_e32 v3, v200, v3
	v_fma_f32 v200, 0x3f6eb680, v12, -v248
	s_delay_alu instid0(VALU_DEP_1) | instskip(SKIP_2) | instid1(VALU_DEP_2)
	v_add_f32_e32 v3, v200, v3
	v_fma_f32 v200, 0xbf7ba420, v76, -v249
	v_fmac_f32_e32 v249, 0xbf7ba420, v76
	v_add_f32_e32 v3, v200, v3
	v_fma_f32 v200, 0x3f3d2fb0, v78, -v250
	v_fmac_f32_e32 v244, 0x3ee437d1, v4
	v_fmac_f32_e32 v250, 0x3f3d2fb0, v78
	s_delay_alu instid0(VALU_DEP_3) | instskip(SKIP_1) | instid1(VALU_DEP_2)
	v_dual_add_f32 v200, v200, v3 :: v_dual_fmamk_f32 v3, v170, 0xbe8c1d8e, v251
	v_fmac_f32_e32 v247, 0xbf1a4643, v8
	v_add_f32_e32 v3, v3, v2
	v_fma_f32 v2, 0xbe8c1d8e, v91, -v252
	v_fmac_f32_e32 v252, 0xbe8c1d8e, v91
	s_delay_alu instid0(VALU_DEP_2) | instskip(SKIP_1) | instid1(VALU_DEP_1)
	v_add_f32_e32 v2, v2, v200
	v_fmamk_f32 v200, v5, 0xbeb8f4ab, v253
	v_add_f32_e32 v200, v200, v212
	v_mul_f32_e32 v212, 0xbf59a7d5, v96
	s_delay_alu instid0(VALU_DEP_1) | instskip(NEXT) | instid1(VALU_DEP_1)
	v_fmamk_f32 v201, v7, 0x3f06c442, v212
	v_dual_add_f32 v200, v201, v200 :: v_dual_fmamk_f32 v201, v10, 0xbf2c7751, v254
	s_delay_alu instid0(VALU_DEP_1) | instskip(NEXT) | instid1(VALU_DEP_1)
	v_dual_add_f32 v200, v201, v200 :: v_dual_fmamk_f32 v201, v14, 0x3f4c4adb, v255
	v_dual_fmac_f32 v245, 0x3dbcf732, v6 :: v_dual_add_f32 v200, v201, v200
	v_mul_f32_e32 v168, 0x3eb8f4ab, v93
	s_delay_alu instid0(VALU_DEP_1) | instskip(NEXT) | instid1(VALU_DEP_1)
	v_fmamk_f32 v201, v4, 0x3f6eb680, v168
	v_dual_add_f32 v201, v201, v218 :: v_dual_mul_f32 v218, 0x3ee437d1, v108
	v_fmac_f32_e32 v248, 0x3f6eb680, v12
	s_delay_alu instid0(VALU_DEP_2) | instskip(NEXT) | instid1(VALU_DEP_1)
	v_fmamk_f32 v177, v77, 0xbf65296c, v218
	v_dual_fmac_f32 v218, 0x3f65296c, v77 :: v_dual_add_f32 v177, v177, v200
	v_fmamk_f32 v200, v6, 0xbf59a7d5, v178
	s_delay_alu instid0(VALU_DEP_1) | instskip(SKIP_2) | instid1(VALU_DEP_2)
	v_add_f32_e32 v200, v200, v201
	v_fmamk_f32 v201, v8, 0x3f3d2fb0, v179
	v_fmac_f32_e32 v254, 0x3f2c7751, v10
	v_dual_add_f32 v200, v201, v200 :: v_dual_fmamk_f32 v201, v90, 0x3f763a35, v180
	v_mul_f32_e32 v181, 0xbf4c4adb, v101
	s_delay_alu instid0(VALU_DEP_2) | instskip(NEXT) | instid1(VALU_DEP_2)
	v_add_f32_e32 v177, v201, v177
	v_fmamk_f32 v201, v12, 0xbf1a4643, v181
	v_mul_f32_e32 v182, 0x3f65296c, v107
	v_fmac_f32_e32 v212, 0xbf06c442, v7
	s_delay_alu instid0(VALU_DEP_2) | instskip(NEXT) | instid1(VALU_DEP_1)
	v_dual_add_f32 v200, v201, v200 :: v_dual_fmamk_f32 v201, v76, 0x3ee437d1, v182
	v_dual_add_f32 v200, v201, v200 :: v_dual_fmamk_f32 v201, v78, 0xbe8c1d8e, v183
	v_fmac_f32_e32 v180, 0xbf763a35, v90
	s_delay_alu instid0(VALU_DEP_2) | instskip(NEXT) | instid1(VALU_DEP_1)
	v_dual_add_f32 v200, v201, v200 :: v_dual_fmamk_f32 v201, v92, 0xbf7ee86f, v184
	v_add_f32_e32 v201, v201, v177
	v_mul_f32_e32 v177, 0x3f7ee86f, v169
	s_delay_alu instid0(VALU_DEP_1) | instskip(SKIP_1) | instid1(VALU_DEP_2)
	v_fmamk_f32 v185, v91, 0x3dbcf732, v177
	v_fmac_f32_e32 v184, 0x3f7ee86f, v92
	v_add_f32_e32 v200, v185, v200
	v_fma_f32 v185, 0x3ee437d1, v94, -v202
	v_fma_f32 v202, 0x3dbcf732, v96, -v203
	;; [unrolled: 1-line block ×3, first 2 shown]
	s_delay_alu instid0(VALU_DEP_3) | instskip(NEXT) | instid1(VALU_DEP_1)
	v_add_f32_e32 v185, v185, v205
	v_add_f32_e32 v185, v202, v185
	v_fma_f32 v202, 0xbf1a4643, v100, -v204
	s_delay_alu instid0(VALU_DEP_1) | instskip(NEXT) | instid1(VALU_DEP_1)
	v_add_f32_e32 v185, v202, v185
	v_add_f32_e32 v185, v203, v185
	v_fma_f32 v203, 0xbf7ba420, v108, -v216
	v_mul_f32_e32 v216, 0xbf59a7d5, v100
	v_add_f32_e32 v202, v244, v222
	v_mul_f32_e32 v222, 0x3dbcf732, v105
	s_delay_alu instid0(VALU_DEP_4) | instskip(SKIP_1) | instid1(VALU_DEP_1)
	v_dual_mul_f32 v244, 0x3f3d2fb0, v108 :: v_dual_add_f32 v185, v203, v185
	v_fma_f32 v203, 0x3f3d2fb0, v161, -v246
	v_dual_mul_f32 v246, 0xbeb8f4ab, v95 :: v_dual_add_f32 v185, v203, v185
	v_fma_f32 v203, 0xbe8c1d8e, v170, -v251
	s_delay_alu instid0(VALU_DEP_1) | instskip(SKIP_1) | instid1(VALU_DEP_1)
	v_add_f32_e32 v203, v203, v185
	v_mul_f32_e32 v185, 0xbe8c1d8e, v94
	v_fmamk_f32 v204, v5, 0xbf763a35, v185
	s_delay_alu instid0(VALU_DEP_1) | instskip(SKIP_1) | instid1(VALU_DEP_2)
	v_dual_add_f32 v204, v204, v213 :: v_dual_mul_f32 v213, 0x3f6eb680, v96
	v_dual_add_f32 v202, v245, v202 :: v_dual_mul_f32 v245, 0x3f763a35, v93
	v_fmamk_f32 v205, v7, 0x3eb8f4ab, v213
	s_delay_alu instid0(VALU_DEP_2) | instskip(NEXT) | instid1(VALU_DEP_2)
	v_dual_add_f32 v202, v247, v202 :: v_dual_mul_f32 v247, 0xbf06c442, v97
	v_dual_add_f32 v204, v205, v204 :: v_dual_fmamk_f32 v205, v10, 0x3f06c442, v216
	s_delay_alu instid0(VALU_DEP_2) | instskip(SKIP_1) | instid1(VALU_DEP_3)
	v_add_f32_e32 v202, v248, v202
	v_mul_f32_e32 v248, 0x3f7ee86f, v101
	v_dual_add_f32 v204, v205, v204 :: v_dual_fmamk_f32 v205, v14, 0xbf7ee86f, v222
	s_delay_alu instid0(VALU_DEP_3) | instskip(NEXT) | instid1(VALU_DEP_2)
	v_dual_add_f32 v202, v249, v202 :: v_dual_mul_f32 v249, 0xbf2c7751, v107
	v_dual_fmac_f32 v185, 0x3f763a35, v5 :: v_dual_add_f32 v204, v205, v204
	s_delay_alu instid0(VALU_DEP_2) | instskip(SKIP_1) | instid1(VALU_DEP_2)
	v_dual_fmamk_f32 v205, v77, 0x3f2c7751, v244 :: v_dual_add_f32 v202, v250, v202
	v_mul_f32_e32 v250, 0xbe3c28d5, v111
	v_dual_add_f32 v204, v205, v204 :: v_dual_fmamk_f32 v205, v4, 0xbe8c1d8e, v245
	s_delay_alu instid0(VALU_DEP_3) | instskip(SKIP_2) | instid1(VALU_DEP_4)
	v_add_f32_e32 v202, v252, v202
	v_mul_f32_e32 v252, 0x3f65296c, v169
	v_mul_f32_e32 v251, 0x3ee437d1, v170
	v_add_f32_e32 v205, v205, v223
	v_mul_f32_e32 v223, 0xbf7ba420, v161
	v_fmac_f32_e32 v216, 0xbf06c442, v10
	s_delay_alu instid0(VALU_DEP_2) | instskip(NEXT) | instid1(VALU_DEP_1)
	v_fmamk_f32 v206, v90, 0x3e3c28d5, v223
	v_add_f32_e32 v204, v206, v204
	v_fmamk_f32 v206, v6, 0x3f6eb680, v246
	v_fmac_f32_e32 v213, 0xbeb8f4ab, v7
	s_delay_alu instid0(VALU_DEP_2) | instskip(NEXT) | instid1(VALU_DEP_1)
	v_dual_add_f32 v205, v206, v205 :: v_dual_fmamk_f32 v206, v8, 0xbf59a7d5, v247
	v_dual_add_f32 v205, v206, v205 :: v_dual_fmamk_f32 v206, v12, 0x3dbcf732, v248
	v_fmac_f32_e32 v244, 0xbf2c7751, v77
	s_delay_alu instid0(VALU_DEP_2) | instskip(NEXT) | instid1(VALU_DEP_1)
	v_dual_add_f32 v205, v206, v205 :: v_dual_fmamk_f32 v206, v76, 0x3f3d2fb0, v249
	v_add_f32_e32 v205, v206, v205
	v_fmamk_f32 v206, v78, 0xbf7ba420, v250
	s_delay_alu instid0(VALU_DEP_1) | instskip(NEXT) | instid1(VALU_DEP_1)
	v_dual_add_f32 v206, v206, v205 :: v_dual_fmamk_f32 v205, v92, 0xbf65296c, v251
	v_dual_add_f32 v205, v205, v204 :: v_dual_fmamk_f32 v204, v91, 0x3ee437d1, v252
	v_fmac_f32_e32 v222, 0x3f7ee86f, v14
	v_fmac_f32_e32 v251, 0x3f65296c, v92
	;; [unrolled: 1-line block ×3, first 2 shown]
	s_delay_alu instid0(VALU_DEP_4) | instskip(SKIP_2) | instid1(VALU_DEP_2)
	v_add_f32_e32 v204, v204, v206
	v_fma_f32 v206, 0xbf59a7d5, v94, -v209
	v_fma_f32 v209, 0x3ee437d1, v100, -v233
	v_dual_mul_f32 v233, 0xbe3c28d5, v93 :: v_dual_add_f32 v206, v206, v207
	v_fma_f32 v207, 0x3f3d2fb0, v96, -v232
	v_mul_f32_e32 v232, 0x3f6eb680, v100
	v_mul_f32_e32 v100, 0x3dbcf732, v100
	s_delay_alu instid0(VALU_DEP_3) | instskip(NEXT) | instid1(VALU_DEP_1)
	v_add_f32_e32 v206, v207, v206
	v_add_f32_e32 v206, v209, v206
	v_fma_f32 v209, 0xbf7ba420, v105, -v234
	v_fmac_f32_e32 v223, 0xbe3c28d5, v90
	s_delay_alu instid0(VALU_DEP_2) | instskip(NEXT) | instid1(VALU_DEP_1)
	v_add_f32_e32 v206, v209, v206
	v_dual_add_f32 v206, v208, v206 :: v_dual_add_f32 v207, v235, v217
	v_fma_f32 v208, 0x3f6eb680, v161, -v237
	v_mul_f32_e32 v217, 0xbf7ba420, v94
	s_delay_alu instid0(VALU_DEP_3) | instskip(NEXT) | instid1(VALU_DEP_1)
	v_add_f32_e32 v207, v236, v207
	v_dual_add_f32 v206, v208, v206 :: v_dual_add_f32 v207, v238, v207
	s_delay_alu instid0(VALU_DEP_1) | instskip(NEXT) | instid1(VALU_DEP_1)
	v_add_f32_e32 v207, v239, v207
	v_add_f32_e32 v207, v240, v207
	s_delay_alu instid0(VALU_DEP_1) | instskip(SKIP_2) | instid1(VALU_DEP_2)
	v_add_f32_e32 v208, v241, v207
	v_fma_f32 v207, 0xbf1a4643, v170, -v242
	v_mul_f32_e32 v242, 0x3f3d2fb0, v170
	v_add_f32_e32 v207, v207, v206
	s_delay_alu instid0(VALU_DEP_4) | instskip(SKIP_1) | instid1(VALU_DEP_1)
	v_add_f32_e32 v206, v243, v208
	v_fmamk_f32 v208, v5, 0x3e3c28d5, v217
	v_dual_mul_f32 v243, 0x3f2c7751, v169 :: v_dual_add_f32 v208, v208, v214
	v_mul_f32_e32 v214, 0xbe8c1d8e, v96
	v_mul_f32_e32 v96, 0x3ee437d1, v96
	s_delay_alu instid0(VALU_DEP_2) | instskip(NEXT) | instid1(VALU_DEP_1)
	v_fmamk_f32 v209, v7, 0xbf763a35, v214
	v_dual_add_f32 v208, v209, v208 :: v_dual_fmamk_f32 v209, v10, 0xbeb8f4ab, v232
	s_delay_alu instid0(VALU_DEP_1) | instskip(SKIP_1) | instid1(VALU_DEP_1)
	v_dual_fmac_f32 v217, 0xbe3c28d5, v5 :: v_dual_add_f32 v208, v209, v208
	v_fmamk_f32 v209, v4, 0xbf7ba420, v233
	v_dual_add_f32 v209, v209, v224 :: v_dual_mul_f32 v224, 0x3ee437d1, v105
	s_delay_alu instid0(VALU_DEP_1) | instskip(NEXT) | instid1(VALU_DEP_1)
	v_fmamk_f32 v234, v14, 0x3f65296c, v224
	v_add_f32_e32 v208, v234, v208
	v_mul_f32_e32 v234, 0x3f763a35, v95
	v_mul_f32_e32 v95, 0xbf65296c, v95
	s_delay_alu instid0(VALU_DEP_2) | instskip(NEXT) | instid1(VALU_DEP_1)
	v_fmamk_f32 v235, v6, 0xbe8c1d8e, v234
	v_dual_fmac_f32 v214, 0x3f763a35, v7 :: v_dual_add_f32 v209, v235, v209
	v_mul_f32_e32 v235, 0xbf59a7d5, v108
	s_delay_alu instid0(VALU_DEP_1) | instskip(NEXT) | instid1(VALU_DEP_1)
	v_fmamk_f32 v236, v77, 0x3f06c442, v235
	v_add_f32_e32 v208, v236, v208
	v_mul_f32_e32 v236, 0x3eb8f4ab, v97
	v_mul_f32_e32 v97, 0xbf7ee86f, v97
	s_delay_alu instid0(VALU_DEP_2) | instskip(NEXT) | instid1(VALU_DEP_1)
	v_fmamk_f32 v237, v8, 0x3f6eb680, v236
	v_dual_fmac_f32 v232, 0x3eb8f4ab, v10 :: v_dual_add_f32 v209, v237, v209
	v_mul_f32_e32 v237, 0xbf1a4643, v161
	s_delay_alu instid0(VALU_DEP_1) | instskip(NEXT) | instid1(VALU_DEP_1)
	v_fmamk_f32 v238, v90, 0xbf4c4adb, v237
	v_add_f32_e32 v208, v238, v208
	v_mul_f32_e32 v238, 0xbf65296c, v101
	s_delay_alu instid0(VALU_DEP_1) | instskip(NEXT) | instid1(VALU_DEP_1)
	v_fmamk_f32 v239, v12, 0x3ee437d1, v238
	v_dual_fmac_f32 v224, 0xbf65296c, v14 :: v_dual_add_f32 v209, v239, v209
	v_mul_f32_e32 v239, 0xbf06c442, v107
	v_mul_f32_e32 v107, 0xbf4c4adb, v107
	s_delay_alu instid0(VALU_DEP_2) | instskip(SKIP_1) | instid1(VALU_DEP_2)
	v_fmamk_f32 v240, v76, 0xbf59a7d5, v239
	v_fmac_f32_e32 v235, 0xbf06c442, v77
	v_dual_add_f32 v209, v240, v209 :: v_dual_mul_f32 v240, 0x3f4c4adb, v111
	s_delay_alu instid0(VALU_DEP_1) | instskip(NEXT) | instid1(VALU_DEP_1)
	v_fmamk_f32 v241, v78, 0xbf1a4643, v240
	v_add_f32_e32 v241, v241, v209
	v_fmamk_f32 v209, v92, 0xbf2c7751, v242
	s_delay_alu instid0(VALU_DEP_1) | instskip(NEXT) | instid1(VALU_DEP_1)
	v_dual_add_f32 v209, v209, v208 :: v_dual_fmamk_f32 v208, v91, 0x3f3d2fb0, v243
	v_add_f32_e32 v208, v208, v241
	v_mul_f32_e32 v241, 0xbf4c4adb, v5
	s_delay_alu instid0(VALU_DEP_1) | instskip(NEXT) | instid1(VALU_DEP_1)
	v_sub_f32_e32 v160, v160, v241
	v_add_f32_e32 v160, v160, v226
	v_mul_f32_e32 v226, 0x3e3c28d5, v7
	v_fmac_f32_e32 v237, 0x3f4c4adb, v90
	s_delay_alu instid0(VALU_DEP_2) | instskip(NEXT) | instid1(VALU_DEP_1)
	v_dual_sub_f32 v171, v171, v226 :: v_dual_mul_f32 v226, 0xbf1a4643, v4
	v_dual_add_f32 v160, v171, v160 :: v_dual_mul_f32 v171, 0x3f763a35, v10
	s_delay_alu instid0(VALU_DEP_2) | instskip(NEXT) | instid1(VALU_DEP_2)
	v_add_f32_e32 v159, v226, v159
	v_sub_f32_e32 v171, v175, v171
	v_mul_f32_e32 v175, 0xbf7ba420, v6
	s_delay_alu instid0(VALU_DEP_3) | instskip(NEXT) | instid1(VALU_DEP_3)
	v_dual_add_f32 v159, v159, v227 :: v_dual_fmac_f32 v242, 0x3f2c7751, v92
	v_add_f32_e32 v160, v171, v160
	s_delay_alu instid0(VALU_DEP_3) | instskip(NEXT) | instid1(VALU_DEP_1)
	v_add_f32_e32 v164, v175, v164
	v_dual_add_f32 v159, v164, v159 :: v_dual_mul_f32 v164, 0xbe8c1d8e, v8
	s_delay_alu instid0(VALU_DEP_1) | instskip(NEXT) | instid1(VALU_DEP_1)
	v_dual_mul_f32 v171, 0x3f2c7751, v14 :: v_dual_add_f32 v164, v164, v89
	v_sub_f32_e32 v171, v198, v171
	s_delay_alu instid0(VALU_DEP_1) | instskip(SKIP_1) | instid1(VALU_DEP_1)
	v_dual_add_f32 v160, v171, v160 :: v_dual_add_f32 v159, v164, v159
	v_mul_f32_e32 v164, 0x3f3d2fb0, v12
	v_dual_mul_f32 v171, 0xbeb8f4ab, v77 :: v_dual_add_f32 v164, v164, v196
	s_delay_alu instid0(VALU_DEP_1) | instskip(NEXT) | instid1(VALU_DEP_2)
	v_sub_f32_e32 v171, v99, v171
	v_dual_add_f32 v159, v164, v159 :: v_dual_mul_f32 v164, 0x3f6eb680, v76
	s_delay_alu instid0(VALU_DEP_2) | instskip(NEXT) | instid1(VALU_DEP_2)
	v_dual_add_f32 v160, v171, v160 :: v_dual_mul_f32 v171, 0xbf7ee86f, v90
	v_add_f32_e32 v164, v164, v199
	s_delay_alu instid0(VALU_DEP_2) | instskip(NEXT) | instid1(VALU_DEP_2)
	v_sub_f32_e32 v171, v102, v171
	v_dual_add_f32 v159, v164, v159 :: v_dual_mul_f32 v164, 0x3dbcf732, v78
	s_delay_alu instid0(VALU_DEP_2) | instskip(NEXT) | instid1(VALU_DEP_2)
	v_add_f32_e32 v160, v171, v160
	v_dual_mul_f32 v171, 0xbf06c442, v92 :: v_dual_add_f32 v164, v164, v98
	s_delay_alu instid0(VALU_DEP_1) | instskip(SKIP_1) | instid1(VALU_DEP_2)
	v_sub_f32_e32 v171, v109, v171
	v_mul_f32_e32 v109, 0x3dbcf732, v4
	v_dual_add_f32 v160, v171, v160 :: v_dual_add_f32 v159, v164, v159
	v_mul_f32_e32 v164, 0xbf59a7d5, v91
	s_delay_alu instid0(VALU_DEP_3) | instskip(NEXT) | instid1(VALU_DEP_2)
	v_add_f32_e32 v98, v109, v162
	v_add_f32_e32 v164, v164, v103
	s_delay_alu instid0(VALU_DEP_1) | instskip(SKIP_1) | instid1(VALU_DEP_1)
	v_dual_add_f32 v98, v98, v229 :: v_dual_add_f32 v159, v164, v159
	v_mul_f32_e32 v164, 0xbf7ee86f, v5
	v_dual_sub_f32 v99, v163, v164 :: v_dual_mul_f32 v164, 0xbf4c4adb, v7
	s_delay_alu instid0(VALU_DEP_1) | instskip(NEXT) | instid1(VALU_DEP_2)
	v_add_f32_e32 v99, v99, v228
	v_sub_f32_e32 v103, v173, v164
	s_delay_alu instid0(VALU_DEP_1) | instskip(SKIP_1) | instid1(VALU_DEP_1)
	v_add_f32_e32 v99, v103, v99
	v_mul_f32_e32 v103, 0xbe3c28d5, v10
	v_sub_f32_e32 v103, v176, v103
	s_delay_alu instid0(VALU_DEP_1) | instskip(SKIP_1) | instid1(VALU_DEP_1)
	v_add_f32_e32 v99, v103, v99
	v_mul_f32_e32 v103, 0x3f06c442, v14
	;; [unrolled: 4-line block ×3, first 2 shown]
	v_dual_add_f32 v102, v103, v172 :: v_dual_mul_f32 v103, 0x3f763a35, v77
	s_delay_alu instid0(VALU_DEP_1) | instskip(NEXT) | instid1(VALU_DEP_2)
	v_add_f32_e32 v98, v102, v98
	v_dual_mul_f32 v102, 0xbf7ba420, v8 :: v_dual_sub_f32 v103, v192, v103
	s_delay_alu instid0(VALU_DEP_1) | instskip(NEXT) | instid1(VALU_DEP_1)
	v_add_f32_e32 v102, v102, v174
	v_add_f32_e32 v98, v102, v98
	v_mul_f32_e32 v102, 0xbf59a7d5, v12
	s_delay_alu instid0(VALU_DEP_1) | instskip(NEXT) | instid1(VALU_DEP_1)
	v_add_f32_e32 v102, v102, v189
	v_add_f32_e32 v98, v102, v98
	v_mul_f32_e32 v102, 0xbe8c1d8e, v76
	s_delay_alu instid0(VALU_DEP_1) | instskip(NEXT) | instid1(VALU_DEP_1)
	v_add_f32_e32 v102, v102, v191
	v_dual_add_f32 v99, v103, v99 :: v_dual_add_f32 v98, v102, v98
	v_mul_f32_e32 v102, 0x3ee437d1, v78
	s_delay_alu instid0(VALU_DEP_1) | instskip(NEXT) | instid1(VALU_DEP_1)
	v_add_f32_e32 v102, v102, v194
	v_add_f32_e32 v98, v102, v98
	v_mul_f32_e32 v102, 0x3f6eb680, v91
	s_delay_alu instid0(VALU_DEP_1) | instskip(NEXT) | instid1(VALU_DEP_1)
	v_add_f32_e32 v102, v102, v106
	v_add_f32_e32 v98, v102, v98
	v_mul_f32_e32 v102, 0x3f3d2fb0, v94
	s_delay_alu instid0(VALU_DEP_1) | instskip(NEXT) | instid1(VALU_DEP_1)
	v_fmamk_f32 v94, v5, 0x3f2c7751, v102
	v_dual_mul_f32 v103, 0x3f65296c, v90 :: v_dual_add_f32 v94, v94, v75
	s_delay_alu instid0(VALU_DEP_1) | instskip(SKIP_2) | instid1(VALU_DEP_3)
	v_sub_f32_e32 v103, v195, v103
	v_add_f32_e32 v75, v230, v231
	v_mul_f32_e32 v101, 0xbf763a35, v101
	v_add_f32_e32 v99, v103, v99
	s_delay_alu instid0(VALU_DEP_3) | instskip(NEXT) | instid1(VALU_DEP_1)
	v_dual_mul_f32 v103, 0x3eb8f4ab, v92 :: v_dual_add_f32 v20, v20, v75
	v_sub_f32_e32 v103, v110, v103
	s_delay_alu instid0(VALU_DEP_1) | instskip(SKIP_1) | instid1(VALU_DEP_2)
	v_dual_add_f32 v20, v22, v20 :: v_dual_add_f32 v99, v103, v99
	v_fmamk_f32 v103, v7, 0x3f65296c, v96
	v_dual_add_f32 v19, v18, v20 :: v_dual_add_f32 v20, v23, v21
	v_fmac_f32_e32 v96, 0xbf65296c, v7
	v_fma_f32 v7, 0x3f6eb680, v8, -v236
	s_delay_alu instid0(VALU_DEP_4) | instskip(NEXT) | instid1(VALU_DEP_4)
	v_dual_add_f32 v94, v103, v94 :: v_dual_fmamk_f32 v103, v10, 0x3f7ee86f, v100
	v_dual_add_f32 v18, v15, v19 :: v_dual_add_f32 v17, v17, v20
	v_fmac_f32_e32 v100, 0xbf7ee86f, v10
	v_fma_f32 v10, 0x3f3d2fb0, v91, -v243
	s_delay_alu instid0(VALU_DEP_4) | instskip(NEXT) | instid1(VALU_DEP_4)
	v_dual_add_f32 v94, v103, v94 :: v_dual_mul_f32 v103, 0xbe8c1d8e, v105
	v_add_f32_e32 v18, v84, v18
	s_delay_alu instid0(VALU_DEP_2) | instskip(NEXT) | instid1(VALU_DEP_2)
	v_dual_add_f32 v16, v16, v17 :: v_dual_fmamk_f32 v105, v14, 0x3f763a35, v103
	v_add_f32_e32 v17, v190, v18
	s_delay_alu instid0(VALU_DEP_2) | instskip(SKIP_1) | instid1(VALU_DEP_4)
	v_add_f32_e32 v9, v9, v16
	v_fmac_f32_e32 v103, 0xbf763a35, v14
	v_dual_add_f32 v94, v105, v94 :: v_dual_mul_f32 v105, 0xbf1a4643, v108
	v_mul_f32_e32 v108, 0xbf59a7d5, v161
	s_delay_alu instid0(VALU_DEP_4) | instskip(SKIP_1) | instid1(VALU_DEP_4)
	v_add_f32_e32 v9, v11, v9
	v_add_f32_e32 v16, v27, v17
	v_fmamk_f32 v106, v77, 0x3f4c4adb, v105
	s_delay_alu instid0(VALU_DEP_4) | instskip(NEXT) | instid1(VALU_DEP_4)
	v_fmamk_f32 v109, v90, 0x3f06c442, v108
	v_add_f32_e32 v9, v25, v9
	s_delay_alu instid0(VALU_DEP_4) | instskip(NEXT) | instid1(VALU_DEP_4)
	v_dual_add_f32 v11, v26, v16 :: v_dual_fmac_f32 v108, 0xbf06c442, v90
	v_add_f32_e32 v94, v106, v94
	v_mul_f32_e32 v106, 0xbf2c7751, v93
	s_delay_alu instid0(VALU_DEP_4) | instskip(NEXT) | instid1(VALU_DEP_4)
	v_add_f32_e32 v9, v24, v9
	v_add_f32_e32 v11, v193, v11
	s_delay_alu instid0(VALU_DEP_4)
	v_dual_fmac_f32 v105, 0xbf4c4adb, v77 :: v_dual_add_f32 v94, v109, v94
	v_fmamk_f32 v109, v6, 0x3ee437d1, v95
	v_fmamk_f32 v93, v4, 0x3f3d2fb0, v106
	v_add_f32_e32 v9, v13, v9
	scratch_load_b32 v13, off, off offset:36 th:TH_LOAD_LU ; 4-byte Folded Reload
	v_dual_add_f32 v11, v87, v11 :: v_dual_fmac_f32 v102, 0xbf2c7751, v5
	v_add_f32_e32 v93, v93, v225
	v_add_f32_e32 v9, v86, v9
	s_delay_alu instid0(VALU_DEP_3) | instskip(NEXT) | instid1(VALU_DEP_3)
	v_add_f32_e32 v11, v82, v11
	v_add_f32_e32 v93, v109, v93
	v_fmamk_f32 v109, v8, 0x3dbcf732, v97
	s_delay_alu instid0(VALU_DEP_4) | instskip(NEXT) | instid1(VALU_DEP_2)
	v_add_f32_e32 v9, v88, v9
	v_add_f32_e32 v93, v109, v93
	v_fmamk_f32 v109, v12, 0xbe8c1d8e, v101
	s_delay_alu instid0(VALU_DEP_3) | instskip(NEXT) | instid1(VALU_DEP_2)
	v_add_f32_e32 v9, v83, v9
	v_add_f32_e32 v93, v109, v93
	v_fmamk_f32 v109, v76, 0xbf1a4643, v107
	s_delay_alu instid0(VALU_DEP_3)
	v_add_f32_e32 v15, v80, v9
	scratch_load_b32 v9, off, off offset:32 th:TH_LOAD_LU ; 4-byte Folded Reload
	v_add_f32_e32 v93, v109, v93
	v_mul_f32_e32 v109, 0xbf06c442, v111
	s_wait_loadcnt 0x1
	v_add_f32_e32 v11, v13, v11
	scratch_load_b32 v13, off, off offset:28 th:TH_LOAD_LU ; 4-byte Folded Reload
	v_add_f32_e32 v11, v79, v11
	s_delay_alu instid0(VALU_DEP_1) | instskip(SKIP_2) | instid1(VALU_DEP_1)
	v_dual_mul_f32 v111, 0xbe3c28d5, v169 :: v_dual_add_f32 v16, v81, v11
	v_fma_f32 v11, 0x3f6eb680, v4, -v168
	s_wait_loadcnt 0x0
	v_add_f32_e32 v11, v11, v13
	v_fma_f32 v13, 0xbf59a7d5, v6, -v178
	v_mov_b32_e32 v178, v188
	v_fmamk_f32 v110, v78, 0xbf59a7d5, v109
	s_delay_alu instid0(VALU_DEP_3) | instskip(SKIP_1) | instid1(VALU_DEP_3)
	v_dual_mov_b32 v188, v210 :: v_dual_add_f32 v11, v13, v11
	v_fma_f32 v13, 0x3f3d2fb0, v8, -v179
	v_dual_add_f32 v93, v110, v93 :: v_dual_mul_f32 v110, 0xbf7ba420, v170
	s_delay_alu instid0(VALU_DEP_2) | instskip(SKIP_1) | instid1(VALU_DEP_3)
	v_add_f32_e32 v11, v13, v11
	v_fma_f32 v13, 0xbf1a4643, v12, -v181
	v_fmamk_f32 v161, v92, 0x3e3c28d5, v110
	v_dual_mov_b32 v181, v187 :: v_dual_fmac_f32 v110, 0xbe3c28d5, v92
	v_mov_b32_e32 v187, v220
	s_delay_alu instid0(VALU_DEP_4)
	v_add_f32_e32 v11, v13, v11
	v_fma_f32 v13, 0x3ee437d1, v76, -v182
	v_dual_add_f32 v94, v161, v94 :: v_dual_fmamk_f32 v161, v91, 0xbf7ba420, v111
	v_mov_b32_e32 v182, v186
	scratch_load_b32 v186, off, off         ; 4-byte Folded Reload
	v_add_f32_e32 v11, v13, v11
	v_fma_f32 v13, 0xbe8c1d8e, v78, -v183
	v_add_f32_e32 v93, v161, v93
	s_delay_alu instid0(VALU_DEP_2) | instskip(SKIP_2) | instid1(VALU_DEP_2)
	v_add_f32_e32 v11, v13, v11
	v_fma_f32 v13, 0x3dbcf732, v91, -v177
	v_mov_b32_e32 v177, v219
	v_add_f32_e32 v17, v13, v11
	scratch_load_b32 v13, off, off offset:20 th:TH_LOAD_LU ; 4-byte Folded Reload
	v_fma_f32 v11, 0xbe8c1d8e, v4, -v245
	s_wait_loadcnt 0x0
	s_delay_alu instid0(VALU_DEP_1) | instskip(SKIP_1) | instid1(VALU_DEP_1)
	v_add_f32_e32 v11, v11, v13
	v_fma_f32 v13, 0x3f6eb680, v6, -v246
	v_add_f32_e32 v11, v13, v11
	v_fma_f32 v13, 0xbf59a7d5, v8, -v247
	s_delay_alu instid0(VALU_DEP_1) | instskip(SKIP_1) | instid1(VALU_DEP_1)
	v_add_f32_e32 v11, v13, v11
	v_fma_f32 v13, 0x3dbcf732, v12, -v248
	v_add_f32_e32 v11, v13, v11
	v_fma_f32 v13, 0x3f3d2fb0, v76, -v249
	;; [unrolled: 5-line block ×3, first 2 shown]
	s_delay_alu instid0(VALU_DEP_1)
	v_add_f32_e32 v19, v13, v11
	v_fma_f32 v11, 0xbf7ba420, v4, -v233
	v_fma_f32 v4, 0x3f3d2fb0, v4, -v106
	v_fmac_f32_e32 v253, 0x3eb8f4ab, v5
	v_fma_f32 v5, 0xbe8c1d8e, v6, -v234
	v_fma_f32 v6, 0x3ee437d1, v6, -v95
	scratch_load_b32 v13, off, off offset:12 th:TH_LOAD_LU ; 4-byte Folded Reload
	v_add_f32_e32 v9, v253, v9
	s_delay_alu instid0(VALU_DEP_1) | instskip(NEXT) | instid1(VALU_DEP_1)
	v_add_f32_e32 v9, v212, v9
	v_add_f32_e32 v9, v254, v9
	s_delay_alu instid0(VALU_DEP_1) | instskip(NEXT) | instid1(VALU_DEP_1)
	v_add_f32_e32 v9, v255, v9
	v_add_f32_e32 v9, v218, v9
	s_delay_alu instid0(VALU_DEP_1) | instskip(NEXT) | instid1(VALU_DEP_1)
	v_dual_add_f32 v9, v180, v9 :: v_dual_mov_b32 v180, v215
	v_add_f32_e32 v18, v184, v9
	scratch_load_b32 v9, off, off offset:24 th:TH_LOAD_LU ; 4-byte Folded Reload
	s_wait_loadcnt 0x1
	v_dual_mov_b32 v184, v197 :: v_dual_add_f32 v11, v11, v13
	s_delay_alu instid0(VALU_DEP_1)
	v_add_f32_e32 v5, v5, v11
	scratch_load_b32 v11, off, off offset:8 th:TH_LOAD_LU ; 4-byte Folded Reload
	v_add_f32_e32 v5, v7, v5
	scratch_load_b32 v7, off, off offset:4 th:TH_LOAD_LU ; 4-byte Folded Reload
	s_wait_loadcnt 0x2
	v_add_f32_e32 v9, v185, v9
	v_mov_b32_e32 v185, v72
	s_delay_alu instid0(VALU_DEP_2) | instskip(NEXT) | instid1(VALU_DEP_1)
	v_add_f32_e32 v9, v213, v9
	v_add_f32_e32 v9, v216, v9
	s_delay_alu instid0(VALU_DEP_1) | instskip(NEXT) | instid1(VALU_DEP_1)
	v_add_f32_e32 v9, v222, v9
	v_add_f32_e32 v9, v244, v9
	s_delay_alu instid0(VALU_DEP_1) | instskip(NEXT) | instid1(VALU_DEP_1)
	v_add_f32_e32 v9, v223, v9
	v_add_f32_e32 v20, v251, v9
	scratch_load_b32 v9, off, off offset:16 th:TH_LOAD_LU ; 4-byte Folded Reload
	s_wait_loadcnt 0x2
	v_add_f32_e32 v11, v102, v11
	s_wait_loadcnt 0x1
	v_add_f32_e32 v4, v4, v7
	s_delay_alu instid0(VALU_DEP_1) | instskip(SKIP_1) | instid1(VALU_DEP_2)
	v_dual_add_f32 v7, v96, v11 :: v_dual_add_f32 v4, v6, v4
	v_fma_f32 v6, 0x3dbcf732, v8, -v97
	v_add_f32_e32 v7, v100, v7
	v_fma_f32 v8, 0x3ee437d1, v12, -v238
	s_delay_alu instid0(VALU_DEP_3) | instskip(SKIP_1) | instid1(VALU_DEP_4)
	v_add_f32_e32 v4, v6, v4
	v_fma_f32 v6, 0xbe8c1d8e, v12, -v101
	v_add_f32_e32 v7, v103, v7
	s_delay_alu instid0(VALU_DEP_4)
	v_add_f32_e32 v5, v8, v5
	v_fma_f32 v8, 0xbf59a7d5, v76, -v239
	v_fma_f32 v12, 0xbf7ba420, v91, -v111
	v_add_f32_e32 v4, v6, v4
	v_fma_f32 v6, 0xbf1a4643, v76, -v107
	v_add_f32_e32 v7, v105, v7
	v_add_f32_e32 v5, v8, v5
	v_fma_f32 v8, 0xbf1a4643, v78, -v240
	s_delay_alu instid0(VALU_DEP_4) | instskip(NEXT) | instid1(VALU_DEP_4)
	v_dual_mov_b32 v179, v211 :: v_dual_add_f32 v4, v6, v4
	v_add_f32_e32 v6, v108, v7
	v_lshrrev_b32_e32 v7, 1, v166
	s_delay_alu instid0(VALU_DEP_4) | instskip(SKIP_1) | instid1(VALU_DEP_3)
	v_add_f32_e32 v8, v8, v5
	v_fma_f32 v5, 0xbf59a7d5, v78, -v109
	v_mul_u32_u24_e32 v7, 34, v7
	s_delay_alu instid0(VALU_DEP_2) | instskip(NEXT) | instid1(VALU_DEP_4)
	v_add_f32_e32 v11, v5, v4
	v_dual_mov_b32 v183, v73 :: v_dual_add_f32 v4, v10, v8
	s_delay_alu instid0(VALU_DEP_3) | instskip(NEXT) | instid1(VALU_DEP_1)
	v_or_b32_e32 v7, v7, v221
	v_lshl_add_u32 v13, v7, 3, v167
	s_delay_alu instid0(VALU_DEP_4) | instskip(SKIP_2) | instid1(VALU_DEP_1)
	v_dual_add_f32 v7, v110, v6 :: v_dual_add_f32 v6, v12, v11
	s_wait_loadcnt 0x0
	v_add_f32_e32 v9, v217, v9
	v_add_f32_e32 v9, v214, v9
	s_delay_alu instid0(VALU_DEP_1) | instskip(NEXT) | instid1(VALU_DEP_1)
	v_add_f32_e32 v9, v232, v9
	v_add_f32_e32 v9, v224, v9
	s_delay_alu instid0(VALU_DEP_1) | instskip(NEXT) | instid1(VALU_DEP_1)
	v_add_f32_e32 v9, v235, v9
	v_add_f32_e32 v9, v237, v9
	s_delay_alu instid0(VALU_DEP_1)
	v_add_f32_e32 v5, v242, v9
	ds_store_2addr_b64 v13, v[15:16], v[93:94] offset1:2
	ds_store_2addr_b64 v13, v[98:99], v[159:160] offset0:4 offset1:6
	ds_store_2addr_b64 v13, v[208:209], v[206:207] offset0:8 offset1:10
	;; [unrolled: 1-line block ×7, first 2 shown]
	ds_store_b64 v13, v[6:7] offset:256
.LBB0_25:
	s_wait_alu 0xfffe
	s_or_b32 exec_lo, exec_lo, s1
	v_add_nc_u32_e32 v4, 0x800, v165
	v_add_nc_u32_e32 v5, 0x1000, v165
	;; [unrolled: 1-line block ×4, first 2 shown]
	global_wb scope:SCOPE_SE
	s_wait_storecnt_dscnt 0x0
	s_barrier_signal -1
	s_barrier_wait -1
	global_inv scope:SCOPE_SE
	ds_load_2addr_b64 v[8:11], v165 offset1:68
	ds_load_2addr_b64 v[0:3], v4 offset0:152 offset1:254
	ds_load_2addr_b64 v[24:27], v5 offset0:66 offset1:134
	;; [unrolled: 1-line block ×6, first 2 shown]
	s_and_saveexec_b32 s0, vcc_lo
	s_cbranch_execz .LBB0_27
; %bb.26:
	ds_load_b64 v[28:29], v165 offset:3808
	ds_load_b64 v[30:31], v165 offset:7888
.LBB0_27:
	s_wait_alu 0xfffe
	s_or_b32 exec_lo, exec_lo, s0
	s_wait_dscnt 0x5
	v_dual_mul_f32 v74, v156, v3 :: v_dual_add_nc_u32 v73, 0x220, v165
	s_wait_dscnt 0x4
	v_dual_mul_f32 v75, v156, v2 :: v_dual_mul_f32 v76, v158, v25
	v_add_nc_u32_e32 v72, 0x440, v165
	s_wait_dscnt 0x2
	v_dual_fmac_f32 v74, v155, v2 :: v_dual_mul_f32 v77, v152, v21
	s_delay_alu instid0(VALU_DEP_3) | instskip(SKIP_2) | instid1(VALU_DEP_4)
	v_fma_f32 v3, v155, v3, -v75
	v_mul_f32_e32 v2, v158, v24
	v_fmac_f32_e32 v76, v157, v24
	v_dual_mul_f32 v24, v154, v27 :: v_dual_fmac_f32 v77, v151, v20
	v_mul_f32_e32 v75, v154, v26
	v_sub_f32_e32 v3, v9, v3
	global_wb scope:SCOPE_SE
	s_wait_dscnt 0x0
	v_fmac_f32_e32 v24, v153, v26
	s_barrier_signal -1
	v_fma_f32 v26, v153, v27, -v75
	v_mul_f32_e32 v27, v148, v23
	v_fma_f32 v25, v157, v25, -v2
	v_mul_f32_e32 v2, v152, v20
	v_mul_f32_e32 v20, v150, v16
	;; [unrolled: 1-line block ×3, first 2 shown]
	v_dual_fmac_f32 v27, v147, v22 :: v_dual_mul_f32 v78, v146, v19
	s_delay_alu instid0(VALU_DEP_4) | instskip(NEXT) | instid1(VALU_DEP_3)
	v_fma_f32 v21, v151, v21, -v2
	v_dual_mul_f32 v2, v148, v22 :: v_dual_fmac_f32 v75, v149, v16
	v_fma_f32 v79, v149, v17, -v20
	v_mul_f32_e32 v17, v146, v18
	v_sub_f32_e32 v16, v10, v76
	s_delay_alu instid0(VALU_DEP_4) | instskip(SKIP_1) | instid1(VALU_DEP_4)
	v_fma_f32 v23, v147, v23, -v2
	v_dual_sub_f32 v2, v8, v74 :: v_dual_sub_f32 v21, v15, v21
	v_fma_f32 v74, v145, v19, -v17
	v_sub_f32_e32 v19, v13, v26
	s_delay_alu instid0(VALU_DEP_4)
	v_sub_f32_e32 v23, v5, v23
	v_dual_fmac_f32 v78, v145, v18 :: v_dual_sub_f32 v17, v11, v25
	v_sub_f32_e32 v18, v12, v24
	v_sub_f32_e32 v20, v14, v77
	v_dual_sub_f32 v22, v4, v27 :: v_dual_sub_f32 v27, v1, v74
	v_fma_f32 v8, v8, 2.0, -v2
	v_fma_f32 v9, v9, 2.0, -v3
	v_sub_f32_e32 v24, v6, v75
	v_dual_sub_f32 v25, v7, v79 :: v_dual_sub_f32 v26, v0, v78
	v_fma_f32 v10, v10, 2.0, -v16
	v_fma_f32 v11, v11, 2.0, -v17
	;; [unrolled: 1-line block ×12, first 2 shown]
	s_barrier_wait -1
	global_inv scope:SCOPE_SE
	ds_store_2addr_b64 v178, v[8:9], v[2:3] offset1:34
	ds_store_2addr_b64 v184, v[10:11], v[16:17] offset1:34
	;; [unrolled: 1-line block ×7, first 2 shown]
	s_and_saveexec_b32 s0, vcc_lo
	s_cbranch_execz .LBB0_29
; %bb.28:
	v_mul_f32_e32 v0, v144, v30
	v_lshl_add_u32 v4, v177, 3, v167
	s_delay_alu instid0(VALU_DEP_2) | instskip(SKIP_1) | instid1(VALU_DEP_3)
	v_fma_f32 v0, v143, v31, -v0
	v_mul_f32_e32 v2, v144, v31
	v_add_nc_u32_e32 v4, 0x1800, v4
	s_delay_alu instid0(VALU_DEP_2) | instskip(NEXT) | instid1(VALU_DEP_1)
	v_dual_sub_f32 v1, v29, v0 :: v_dual_fmac_f32 v2, v143, v30
	v_fma_f32 v3, v29, 2.0, -v1
	s_delay_alu instid0(VALU_DEP_2) | instskip(NEXT) | instid1(VALU_DEP_1)
	v_sub_f32_e32 v0, v28, v2
	v_fma_f32 v2, v28, 2.0, -v0
	ds_store_2addr_b64 v4, v[2:3], v[0:1] offset0:184 offset1:218
.LBB0_29:
	s_wait_alu 0xfffe
	s_or_b32 exec_lo, exec_lo, s0
	v_add_nc_u32_e32 v1, 0x800, v165
	v_add_nc_u32_e32 v2, 0x1000, v165
	global_wb scope:SCOPE_SE
	s_wait_dscnt 0x0
	s_barrier_signal -1
	s_barrier_wait -1
	global_inv scope:SCOPE_SE
	ds_load_2addr_b64 v[3:6], v1 offset0:16 offset1:84
	ds_load_2addr_b64 v[7:10], v2 offset0:168 offset1:236
	;; [unrolled: 1-line block ×3, first 2 shown]
	v_add_nc_u32_e32 v0, 0x1800, v165
	s_mov_b32 s2, 0x10101010
	s_mov_b32 s3, 0x3f501010
	s_wait_dscnt 0x2
	v_mul_f32_e32 v31, v33, v6
	s_wait_dscnt 0x1
	v_mul_f32_e32 v77, v35, v8
	ds_load_2addr_b64 v[15:18], v165 offset1:68
	ds_load_2addr_b64 v[19:22], v165 offset0:136 offset1:204
	ds_load_b64 v[74:75], v165 offset:7616
	ds_load_2addr_b64 v[23:26], v0 offset0:48 offset1:116
	ds_load_2addr_b64 v[27:30], v2 offset0:32 offset1:100
	v_mul_f32_e32 v76, v33, v5
	s_wait_dscnt 0x5
	v_dual_mul_f32 v78, v35, v7 :: v_dual_mul_f32 v79, v33, v12
	v_dual_mul_f32 v80, v35, v10 :: v_dual_mul_f32 v33, v33, v11
	v_mul_f32_e32 v35, v35, v9
	v_fmac_f32_e32 v77, v34, v7
	v_fma_f32 v6, v32, v6, -v76
	v_fma_f32 v8, v34, v8, -v78
	v_fmac_f32_e32 v31, v32, v5
	v_mul_f32_e32 v5, v45, v13
	v_dual_fmac_f32 v79, v32, v11 :: v_dual_fmac_f32 v80, v34, v9
	v_fma_f32 v12, v32, v12, -v33
	v_fma_f32 v32, v34, v10, -v35
	s_delay_alu instid0(VALU_DEP_4)
	v_fma_f32 v34, v44, v14, -v5
	s_wait_dscnt 0x4
	v_dual_add_f32 v10, v6, v8 :: v_dual_add_f32 v9, v15, v31
	s_wait_dscnt 0x1
	v_mul_f32_e32 v7, v47, v23
	s_wait_dscnt 0x0
	v_mul_f32_e32 v35, v41, v28
	v_mul_f32_e32 v5, v41, v27
	global_wb scope:SCOPE_SE
	s_barrier_signal -1
	s_barrier_wait -1
	v_fmac_f32_e32 v35, v40, v27
	v_fma_f32 v27, v40, v28, -v5
	v_mul_f32_e32 v40, v37, v30
	v_mul_f32_e32 v81, v45, v14
	v_dual_sub_f32 v11, v6, v8 :: v_dual_sub_f32 v14, v31, v77
	global_inv scope:SCOPE_SE
	v_fmac_f32_e32 v40, v36, v29
	v_fmac_f32_e32 v81, v44, v13
	v_add_f32_e32 v13, v16, v6
	v_fma_f32 v6, -0.5, v10, v16
	v_mul_f32_e32 v33, v47, v24
	v_sub_f32_e32 v16, v79, v80
	v_add_f32_e32 v28, v20, v34
	v_add_f32_e32 v8, v13, v8
	v_fmamk_f32 v10, v14, 0x3f5db3d7, v6
	v_fmac_f32_e32 v6, 0xbf5db3d7, v14
	v_add_f32_e32 v14, v12, v32
	v_fma_f32 v24, v46, v24, -v7
	v_mul_f32_e32 v5, v37, v29
	v_fmac_f32_e32 v33, v46, v23
	v_mul_f32_e32 v37, v39, v75
	v_add_f32_e32 v23, v19, v81
	s_delay_alu instid0(VALU_DEP_4) | instskip(SKIP_3) | instid1(VALU_DEP_3)
	v_fma_f32 v29, v36, v30, -v5
	v_add_f32_e32 v5, v31, v77
	v_sub_f32_e32 v31, v81, v33
	v_add_f32_e32 v13, v17, v79
	v_fma_f32 v5, -0.5, v5, v15
	v_sub_f32_e32 v15, v12, v32
	v_add_f32_e32 v12, v18, v12
	v_fmac_f32_e32 v18, -0.5, v14
	v_mul_f32_e32 v41, v43, v26
	s_delay_alu instid0(VALU_DEP_3) | instskip(NEXT) | instid1(VALU_DEP_3)
	v_dual_mul_f32 v7, v43, v25 :: v_dual_add_f32 v12, v12, v32
	v_fmamk_f32 v14, v16, 0x3f5db3d7, v18
	v_fmac_f32_e32 v18, 0xbf5db3d7, v16
	v_add_f32_e32 v16, v34, v24
	v_fmac_f32_e32 v41, v42, v25
	v_fma_f32 v26, v42, v26, -v7
	v_mul_f32_e32 v7, v39, v74
	v_sub_f32_e32 v25, v34, v24
	v_fma_f32 v16, -0.5, v16, v20
	v_dual_add_f32 v20, v28, v24 :: v_dual_fmac_f32 v37, v38, v74
	v_add_f32_e32 v28, v21, v35
	v_fma_f32 v30, v38, v75, -v7
	s_delay_alu instid0(VALU_DEP_4)
	v_dual_fmamk_f32 v24, v31, 0x3f5db3d7, v16 :: v_dual_add_f32 v7, v9, v77
	v_sub_f32_e32 v32, v27, v26
	v_fmamk_f32 v9, v11, 0xbf5db3d7, v5
	v_fmac_f32_e32 v5, 0x3f5db3d7, v11
	v_dual_add_f32 v11, v79, v80 :: v_dual_add_f32 v34, v4, v29
	v_dual_fmac_f32 v16, 0xbf5db3d7, v31 :: v_dual_add_f32 v31, v27, v26
	s_delay_alu instid0(VALU_DEP_2) | instskip(SKIP_1) | instid1(VALU_DEP_2)
	v_fma_f32 v17, -0.5, v11, v17
	v_add_f32_e32 v11, v13, v80
	v_fmamk_f32 v13, v15, 0xbf5db3d7, v17
	v_fmac_f32_e32 v17, 0x3f5db3d7, v15
	v_add_f32_e32 v15, v81, v33
	s_delay_alu instid0(VALU_DEP_1) | instskip(SKIP_2) | instid1(VALU_DEP_3)
	v_fma_f32 v15, -0.5, v15, v19
	v_add_f32_e32 v19, v23, v33
	v_add_f32_e32 v33, v3, v40
	v_fmamk_f32 v23, v25, 0xbf5db3d7, v15
	v_fmac_f32_e32 v15, 0x3f5db3d7, v25
	v_add_f32_e32 v25, v35, v41
	s_delay_alu instid0(VALU_DEP_1) | instskip(SKIP_2) | instid1(VALU_DEP_3)
	v_fma_f32 v21, -0.5, v25, v21
	v_dual_add_f32 v25, v28, v41 :: v_dual_add_f32 v28, v22, v27
	v_dual_fmac_f32 v22, -0.5, v31 :: v_dual_sub_f32 v31, v35, v41
	v_fmamk_f32 v27, v32, 0xbf5db3d7, v21
	s_delay_alu instid0(VALU_DEP_3) | instskip(SKIP_1) | instid1(VALU_DEP_4)
	v_dual_fmac_f32 v21, 0x3f5db3d7, v32 :: v_dual_add_f32 v26, v28, v26
	v_add_f32_e32 v32, v40, v37
	v_fmamk_f32 v28, v31, 0x3f5db3d7, v22
	v_dual_fmac_f32 v22, 0xbf5db3d7, v31 :: v_dual_add_f32 v31, v29, v30
	v_sub_f32_e32 v35, v40, v37
	s_delay_alu instid0(VALU_DEP_4)
	v_fma_f32 v3, -0.5, v32, v3
	v_sub_f32_e32 v32, v29, v30
	ds_store_2addr_b64 v165, v[7:8], v[9:10] offset1:68
	v_dual_fmac_f32 v4, -0.5, v31 :: v_dual_add_nc_u32 v7, 0x800, v188
	v_dual_add_f32 v29, v33, v37 :: v_dual_add_nc_u32 v8, 0x1000, v187
	v_fmamk_f32 v31, v32, 0xbf5db3d7, v3
	v_dual_fmac_f32 v3, 0x3f5db3d7, v32 :: v_dual_add_f32 v30, v34, v30
	s_delay_alu instid0(VALU_DEP_4)
	v_fmamk_f32 v32, v35, 0x3f5db3d7, v4
	v_fmac_f32_e32 v4, 0xbf5db3d7, v35
	v_add_nc_u32_e32 v9, 0x1800, v186
	ds_store_2addr_b64 v165, v[5:6], v[11:12] offset0:136 offset1:204
	ds_store_2addr_b64 v1, v[13:14], v[17:18] offset0:16 offset1:84
	;; [unrolled: 1-line block ×5, first 2 shown]
	ds_store_b64 v188, v[15:16] offset:4352
	ds_store_b64 v187, v[21:22] offset:5984
	;; [unrolled: 1-line block ×3, first 2 shown]
	global_wb scope:SCOPE_SE
	s_wait_dscnt 0x0
	s_barrier_signal -1
	s_barrier_wait -1
	global_inv scope:SCOPE_SE
	ds_load_2addr_b64 v[3:6], v165 offset0:136 offset1:204
	ds_load_2addr_b64 v[7:10], v1 offset0:152 offset1:220
	;; [unrolled: 1-line block ×5, first 2 shown]
	ds_load_2addr_b64 v[23:26], v165 offset1:68
	ds_load_2addr_b64 v[27:30], v2 offset0:168 offset1:236
	ds_load_b64 v[31:32], v165 offset:7616
	s_wait_dscnt 0x7
	v_mul_f32_e32 v34, v65, v5
	s_wait_dscnt 0x6
	v_mul_f32_e32 v36, v67, v7
	v_mul_f32_e32 v35, v67, v8
	s_wait_dscnt 0x5
	v_mul_f32_e32 v44, v59, v12
	s_wait_dscnt 0x3
	v_mul_f32_e32 v38, v53, v20
	v_fma_f32 v34, v64, v6, -v34
	v_fma_f32 v36, v66, v8, -v36
	v_dual_mul_f32 v8, v71, v16 :: v_dual_mul_f32 v33, v65, v6
	v_mul_f32_e32 v6, v71, v15
	v_fmac_f32_e32 v38, v52, v19
	v_fmac_f32_e32 v44, v58, v11
	s_delay_alu instid0(VALU_DEP_4)
	v_fmac_f32_e32 v8, v70, v15
	v_fmac_f32_e32 v35, v66, v7
	v_mul_f32_e32 v7, v53, v19
	v_fmac_f32_e32 v33, v64, v5
	v_mul_f32_e32 v5, v69, v13
	v_fma_f32 v15, v70, v16, -v6
	s_wait_dscnt 0x1
	v_mul_f32_e32 v6, v61, v27
	v_fma_f32 v40, v52, v20, -v7
	v_mul_f32_e32 v7, v59, v11
	v_fma_f32 v39, v68, v14, -v5
	v_mul_f32_e32 v52, v49, v30
	v_mul_f32_e32 v20, v55, v10
	;; [unrolled: 1-line block ×3, first 2 shown]
	v_fma_f32 v47, v58, v12, -v7
	v_add_f32_e32 v7, v23, v33
	s_wait_dscnt 0x0
	v_dual_mul_f32 v37, v69, v14 :: v_dual_mul_f32 v14, v51, v31
	v_dual_mul_f32 v41, v61, v28 :: v_dual_fmac_f32 v52, v48, v29
	v_fmac_f32_e32 v20, v54, v9
	v_fma_f32 v43, v54, v10, -v5
	v_mul_f32_e32 v5, v63, v17
	s_delay_alu instid0(VALU_DEP_4)
	v_fmac_f32_e32 v41, v60, v27
	v_fma_f32 v27, v60, v28, -v6
	v_mul_f32_e32 v6, v57, v21
	v_sub_f32_e32 v10, v34, v15
	v_fma_f32 v45, v62, v18, -v5
	v_sub_f32_e32 v12, v36, v39
	v_mul_f32_e32 v42, v63, v18
	v_fma_f32 v46, v56, v22, -v6
	v_dual_mul_f32 v6, v49, v29 :: v_dual_mul_f32 v49, v51, v32
	v_mul_f32_e32 v28, v57, v22
	v_add_f32_e32 v22, v25, v38
	v_fmac_f32_e32 v42, v62, v17
	s_delay_alu instid0(VALU_DEP_4)
	v_fma_f32 v48, v48, v30, -v6
	v_dual_add_f32 v6, v7, v35 :: v_dual_fmac_f32 v37, v68, v13
	v_fmac_f32_e32 v49, v50, v31
	v_fma_f32 v50, v50, v32, -v14
	v_sub_f32_e32 v19, v15, v39
	v_add_f32_e32 v18, v36, v39
	v_dual_sub_f32 v11, v8, v37 :: v_dual_sub_f32 v14, v37, v8
	v_dual_sub_f32 v9, v33, v35 :: v_dual_fmac_f32 v28, v56, v21
	v_dual_add_f32 v30, v43, v27 :: v_dual_add_f32 v29, v38, v42
	v_sub_f32_e32 v31, v40, v43
	s_delay_alu instid0(VALU_DEP_3) | instskip(SKIP_2) | instid1(VALU_DEP_3)
	v_dual_add_f32 v16, v9, v11 :: v_dual_add_f32 v5, v35, v37
	v_add_f32_e32 v6, v6, v37
	v_sub_f32_e32 v32, v45, v27
	v_fma_f32 v5, -0.5, v5, v23
	s_delay_alu instid0(VALU_DEP_1) | instskip(SKIP_1) | instid1(VALU_DEP_2)
	v_fmamk_f32 v7, v10, 0xbf737871, v5
	v_fmac_f32_e32 v5, 0x3f737871, v10
	v_fmac_f32_e32 v7, 0xbf167918, v12
	s_delay_alu instid0(VALU_DEP_2) | instskip(NEXT) | instid1(VALU_DEP_2)
	v_fmac_f32_e32 v5, 0x3f167918, v12
	v_fmac_f32_e32 v7, 0x3e9e377a, v16
	s_delay_alu instid0(VALU_DEP_2) | instskip(SKIP_3) | instid1(VALU_DEP_3)
	v_dual_fmac_f32 v5, 0x3e9e377a, v16 :: v_dual_sub_f32 v16, v35, v37
	v_add_f32_e32 v13, v33, v8
	v_add_f32_e32 v17, v24, v34
	v_sub_f32_e32 v37, v47, v46
	v_fma_f32 v9, -0.5, v13, v23
	v_sub_f32_e32 v23, v40, v45
	s_delay_alu instid0(VALU_DEP_2) | instskip(SKIP_3) | instid1(VALU_DEP_4)
	v_fmamk_f32 v13, v12, 0x3f737871, v9
	v_fmac_f32_e32 v9, 0xbf737871, v12
	v_add_f32_e32 v12, v17, v36
	v_sub_f32_e32 v17, v34, v36
	v_fmac_f32_e32 v13, 0xbf167918, v10
	s_delay_alu instid0(VALU_DEP_3) | instskip(NEXT) | instid1(VALU_DEP_3)
	v_dual_fmac_f32 v9, 0x3f167918, v10 :: v_dual_add_f32 v12, v12, v39
	v_add_f32_e32 v17, v17, v19
	v_dual_add_f32 v11, v6, v8 :: v_dual_sub_f32 v6, v35, v33
	v_add_f32_e32 v10, v34, v15
	s_delay_alu instid0(VALU_DEP_4)
	v_add_f32_e32 v12, v12, v15
	v_sub_f32_e32 v19, v36, v34
	v_sub_f32_e32 v36, v28, v49
	v_add_f32_e32 v14, v6, v14
	v_fma_f32 v6, -0.5, v18, v24
	v_sub_f32_e32 v18, v33, v8
	v_fma_f32 v10, -0.5, v10, v24
	v_sub_f32_e32 v15, v39, v15
	v_fmac_f32_e32 v13, 0x3e9e377a, v14
	s_delay_alu instid0(VALU_DEP_4) | instskip(NEXT) | instid1(VALU_DEP_3)
	v_dual_add_f32 v21, v20, v41 :: v_dual_fmamk_f32 v8, v18, 0x3f737871, v6
	v_dual_fmac_f32 v6, 0xbf737871, v18 :: v_dual_add_f32 v19, v19, v15
	v_fmac_f32_e32 v9, 0x3e9e377a, v14
	v_fmamk_f32 v14, v16, 0xbf737871, v10
	s_delay_alu instid0(VALU_DEP_4) | instskip(NEXT) | instid1(VALU_DEP_4)
	v_fmac_f32_e32 v8, 0x3f167918, v16
	v_fmac_f32_e32 v6, 0xbf167918, v16
	;; [unrolled: 1-line block ×3, first 2 shown]
	v_add_f32_e32 v16, v22, v20
	v_fmac_f32_e32 v14, 0x3f167918, v18
	v_fma_f32 v15, -0.5, v21, v25
	v_sub_f32_e32 v21, v38, v20
	v_sub_f32_e32 v24, v42, v41
	v_fmac_f32_e32 v10, 0xbf167918, v18
	v_add_f32_e32 v16, v16, v41
	v_fmac_f32_e32 v14, 0x3e9e377a, v19
	v_sub_f32_e32 v22, v43, v27
	v_add_f32_e32 v18, v21, v24
	s_delay_alu instid0(VALU_DEP_4)
	v_dual_fmac_f32 v10, 0x3e9e377a, v19 :: v_dual_add_f32 v19, v16, v42
	v_sub_f32_e32 v16, v20, v38
	v_sub_f32_e32 v24, v41, v42
	v_fma_f32 v25, -0.5, v29, v25
	v_sub_f32_e32 v35, v52, v49
	v_dual_sub_f32 v33, v47, v48 :: v_dual_add_f32 v34, v28, v49
	s_delay_alu instid0(VALU_DEP_4)
	v_add_f32_e32 v24, v16, v24
	v_fmac_f32_e32 v8, 0x3e9e377a, v17
	v_fmac_f32_e32 v6, 0x3e9e377a, v17
	v_fmamk_f32 v17, v23, 0xbf737871, v15
	v_fma_f32 v16, -0.5, v30, v26
	v_dual_sub_f32 v30, v20, v41 :: v_dual_fmac_f32 v15, 0x3f737871, v23
	v_add_f32_e32 v29, v26, v40
	s_delay_alu instid0(VALU_DEP_4) | instskip(SKIP_2) | instid1(VALU_DEP_4)
	v_fmac_f32_e32 v17, 0xbf167918, v22
	v_fmamk_f32 v21, v22, 0x3f737871, v25
	v_fmac_f32_e32 v25, 0xbf737871, v22
	v_dual_fmac_f32 v15, 0x3f167918, v22 :: v_dual_add_f32 v22, v29, v43
	s_delay_alu instid0(VALU_DEP_1) | instskip(NEXT) | instid1(VALU_DEP_4)
	v_add_f32_e32 v22, v22, v27
	v_fmac_f32_e32 v21, 0xbf167918, v23
	s_delay_alu instid0(VALU_DEP_4) | instskip(SKIP_2) | instid1(VALU_DEP_4)
	v_fmac_f32_e32 v25, 0x3f167918, v23
	v_add_f32_e32 v23, v40, v45
	v_sub_f32_e32 v27, v27, v45
	v_dual_add_f32 v20, v22, v45 :: v_dual_fmac_f32 v21, 0x3e9e377a, v24
	s_delay_alu instid0(VALU_DEP_3) | instskip(SKIP_3) | instid1(VALU_DEP_4)
	v_dual_fmac_f32 v25, 0x3e9e377a, v24 :: v_dual_fmac_f32 v26, -0.5, v23
	v_dual_add_f32 v24, v31, v32 :: v_dual_sub_f32 v29, v38, v42
	v_sub_f32_e32 v23, v43, v40
	v_fmac_f32_e32 v17, 0x3e9e377a, v18
	v_dual_fmamk_f32 v22, v30, 0xbf737871, v26 :: v_dual_add_f32 v31, v44, v52
	v_fmac_f32_e32 v26, 0x3f737871, v30
	s_delay_alu instid0(VALU_DEP_4) | instskip(NEXT) | instid1(VALU_DEP_3)
	v_add_f32_e32 v32, v23, v27
	v_dual_add_f32 v27, v3, v28 :: v_dual_fmac_f32 v22, 0x3f167918, v29
	v_fmac_f32_e32 v15, 0x3e9e377a, v18
	v_fmamk_f32 v18, v29, 0x3f737871, v16
	v_fmac_f32_e32 v16, 0xbf737871, v29
	v_fma_f32 v23, -0.5, v31, v3
	v_fmac_f32_e32 v22, 0x3e9e377a, v32
	s_delay_alu instid0(VALU_DEP_4) | instskip(NEXT) | instid1(VALU_DEP_4)
	v_dual_sub_f32 v31, v49, v52 :: v_dual_fmac_f32 v18, 0x3f167918, v30
	v_fmac_f32_e32 v16, 0xbf167918, v30
	v_sub_f32_e32 v30, v46, v50
	v_fma_f32 v3, -0.5, v34, v3
	v_sub_f32_e32 v34, v44, v28
	v_fmac_f32_e32 v18, 0x3e9e377a, v24
	v_fmac_f32_e32 v16, 0x3e9e377a, v24
	v_add_f32_e32 v24, v27, v44
	v_fmac_f32_e32 v26, 0xbf167918, v29
	v_fmamk_f32 v27, v30, 0xbf737871, v23
	v_sub_f32_e32 v29, v28, v44
	s_delay_alu instid0(VALU_DEP_4) | instskip(NEXT) | instid1(VALU_DEP_4)
	v_dual_fmac_f32 v23, 0x3f737871, v30 :: v_dual_add_f32 v24, v24, v52
	v_fmac_f32_e32 v26, 0x3e9e377a, v32
	s_delay_alu instid0(VALU_DEP_4) | instskip(NEXT) | instid1(VALU_DEP_4)
	v_dual_add_f32 v32, v47, v48 :: v_dual_fmac_f32 v27, 0xbf167918, v33
	v_add_f32_e32 v31, v29, v31
	s_delay_alu instid0(VALU_DEP_4) | instskip(SKIP_2) | instid1(VALU_DEP_4)
	v_fmac_f32_e32 v23, 0x3f167918, v33
	v_add_f32_e32 v29, v24, v49
	v_add_f32_e32 v24, v4, v46
	v_dual_sub_f32 v38, v48, v50 :: v_dual_fmac_f32 v27, 0x3e9e377a, v31
	s_delay_alu instid0(VALU_DEP_4) | instskip(SKIP_4) | instid1(VALU_DEP_4)
	v_fmac_f32_e32 v23, 0x3e9e377a, v31
	v_fmamk_f32 v31, v33, 0x3f737871, v3
	v_fmac_f32_e32 v3, 0xbf737871, v33
	v_add_f32_e32 v33, v24, v47
	v_fma_f32 v24, -0.5, v32, v4
	v_fmac_f32_e32 v31, 0xbf167918, v30
	s_delay_alu instid0(VALU_DEP_4) | instskip(NEXT) | instid1(VALU_DEP_3)
	v_fmac_f32_e32 v3, 0x3f167918, v30
	v_fmamk_f32 v28, v36, 0x3f737871, v24
	v_fmac_f32_e32 v24, 0xbf737871, v36
	v_add_f32_e32 v32, v34, v35
	v_sub_f32_e32 v34, v44, v52
	s_delay_alu instid0(VALU_DEP_1) | instskip(SKIP_2) | instid1(VALU_DEP_2)
	v_dual_sub_f32 v35, v50, v48 :: v_dual_fmac_f32 v24, 0xbf167918, v34
	v_dual_add_f32 v30, v33, v48 :: v_dual_add_f32 v33, v46, v50
	v_fmac_f32_e32 v28, 0x3f167918, v34
	v_add_f32_e32 v30, v30, v50
	s_delay_alu instid0(VALU_DEP_3) | instskip(NEXT) | instid1(VALU_DEP_1)
	v_dual_fmac_f32 v4, -0.5, v33 :: v_dual_sub_f32 v33, v46, v47
	v_add_f32_e32 v33, v33, v35
	v_fmac_f32_e32 v31, 0x3e9e377a, v32
	v_fmac_f32_e32 v3, 0x3e9e377a, v32
	s_delay_alu instid0(VALU_DEP_4)
	v_fmamk_f32 v32, v34, 0xbf737871, v4
	v_fmac_f32_e32 v4, 0x3f737871, v34
	v_fmac_f32_e32 v24, 0x3e9e377a, v33
	;; [unrolled: 1-line block ×3, first 2 shown]
	v_add_nc_u32_e32 v33, 0x600, v165
	v_fmac_f32_e32 v32, 0x3f167918, v36
	v_fmac_f32_e32 v4, 0xbf167918, v36
	ds_store_b64 v165, v[11:12]
	ds_store_2addr_b64 v33, v[7:8], v[13:14] offset0:12 offset1:216
	v_add_nc_u32_e32 v8, 0x1200, v73
	v_dual_add_f32 v34, v37, v38 :: v_dual_add_nc_u32 v7, 0x600, v73
	s_delay_alu instid0(VALU_DEP_1)
	v_fmac_f32_e32 v32, 0x3e9e377a, v34
	v_fmac_f32_e32 v4, 0x3e9e377a, v34
	v_add_nc_u32_e32 v34, 0x1200, v185
	ds_store_2addr_b64 v34, v[9:10], v[5:6] offset0:36 offset1:240
	v_add_nc_u32_e32 v5, 0x600, v72
	v_add_nc_u32_e32 v6, 0x1200, v72
	ds_store_2addr_b64 v7, v[17:18], v[21:22] offset0:12 offset1:216
	ds_store_2addr_b64 v8, v[25:26], v[15:16] offset0:36 offset1:240
	;; [unrolled: 1-line block ×5, first 2 shown]
	global_wb scope:SCOPE_SE
	s_wait_dscnt 0x0
	s_barrier_signal -1
	s_barrier_wait -1
	global_inv scope:SCOPE_SE
	ds_load_2addr_b64 v[3:6], v165 offset1:68
	ds_load_2addr_b64 v[7:10], v1 offset0:152 offset1:254
	v_mad_co_u64_u32 v[21:22], null, s6, v128, 0
	v_mad_co_u64_u32 v[23:24], null, s4, v166, 0
	s_wait_dscnt 0x1
	v_mul_f32_e32 v11, v142, v4
	s_wait_dscnt 0x0
	v_mul_f32_e32 v15, v140, v9
	v_mul_f32_e32 v18, v138, v5
	;; [unrolled: 1-line block ×4, first 2 shown]
	v_fmac_f32_e32 v11, v141, v3
	v_mul_f32_e32 v3, v142, v3
	s_delay_alu instid0(VALU_DEP_2) | instskip(NEXT) | instid1(VALU_DEP_2)
	v_cvt_f64_f32_e32 v[11:12], v11
	v_fma_f32 v3, v141, v4, -v3
	v_mul_f32_e32 v4, v140, v10
	s_delay_alu instid0(VALU_DEP_2) | instskip(NEXT) | instid1(VALU_DEP_2)
	v_cvt_f64_f32_e32 v[13:14], v3
	v_fmac_f32_e32 v4, v139, v9
	v_fma_f32 v3, v139, v10, -v15
	s_delay_alu instid0(VALU_DEP_2) | instskip(NEXT) | instid1(VALU_DEP_2)
	v_cvt_f64_f32_e32 v[9:10], v4
	v_cvt_f64_f32_e32 v[15:16], v3
	v_fma_f32 v3, v137, v6, -v18
	v_mov_b32_e32 v6, v22
	s_delay_alu instid0(VALU_DEP_2) | instskip(NEXT) | instid1(VALU_DEP_2)
	v_cvt_f64_f32_e32 v[19:20], v3
	v_mad_co_u64_u32 v[29:30], null, s7, v128, v[6:7]
	s_delay_alu instid0(VALU_DEP_1) | instskip(NEXT) | instid1(VALU_DEP_1)
	v_mov_b32_e32 v22, v29
	v_lshlrev_b64_e32 v[21:22], 3, v[21:22]
	s_wait_alu 0xfffe
	v_mul_f64_e32 v[11:12], s[2:3], v[11:12]
	s_delay_alu instid0(VALU_DEP_2) | instskip(SKIP_1) | instid1(VALU_DEP_3)
	v_add_co_u32 v6, s0, s8, v21
	s_wait_alu 0xf1ff
	v_add_co_ci_u32_e64 v22, s0, s9, v22, s0
	s_movk_i32 s8, 0xfe46
	v_mul_f64_e32 v[13:14], s[2:3], v[13:14]
	s_mov_b32 s9, -1
	v_mul_f64_e32 v[25:26], s[2:3], v[9:10]
	v_mov_b32_e32 v9, v24
	v_mul_f64_e32 v[15:16], s[2:3], v[15:16]
	s_delay_alu instid0(VALU_DEP_2) | instskip(SKIP_1) | instid1(VALU_DEP_2)
	v_mad_co_u64_u32 v[9:10], null, s5, v166, v[9:10]
	v_mul_f64_e32 v[19:20], s[2:3], v[19:20]
	v_mov_b32_e32 v24, v9
	s_delay_alu instid0(VALU_DEP_1) | instskip(NEXT) | instid1(VALU_DEP_1)
	v_lshlrev_b64_e32 v[23:24], 3, v[23:24]
	v_add_co_u32 v21, s0, v6, v23
	v_add_nc_u32_e32 v6, 0x1400, v165
	v_fmac_f32_e32 v17, v137, v5
	ds_load_2addr_b64 v[2:5], v2 offset0:66 offset1:134
	v_cvt_f32_f64_e32 v29, v[11:12]
	ds_load_2addr_b64 v[9:12], v165 offset0:136 offset1:204
	v_cvt_f32_f64_e32 v30, v[13:14]
	s_wait_alu 0xf1ff
	v_add_co_ci_u32_e64 v22, s0, v22, v24, s0
	s_mul_u64 s[0:1], s[4:5], 0x1fe
	s_wait_alu 0xfffe
	s_mul_u64 s[4:5], s[4:5], s[8:9]
	s_lshl_b64 s[6:7], s[0:1], 3
	v_cvt_f32_f64_e32 v23, v[25:26]
	s_wait_alu 0xfffe
	v_add_co_u32 v53, s0, v21, s6
	v_cvt_f32_f64_e32 v24, v[15:16]
	ds_load_2addr_b64 v[13:16], v6 offset0:74 offset1:142
	s_wait_alu 0xf1ff
	v_add_co_ci_u32_e64 v54, s0, s7, v22, s0
	s_lshl_b64 s[4:5], s[4:5], 3
	v_cvt_f32_f64_e32 v26, v[19:20]
	s_wait_alu 0xfffe
	v_add_co_u32 v55, s0, v53, s4
	s_wait_dscnt 0x2
	v_dual_mul_f32 v27, v136, v3 :: v_dual_mul_f32 v6, v130, v4
	s_wait_alu 0xf1ff
	v_add_co_ci_u32_e64 v56, s0, s5, v54, s0
	s_delay_alu instid0(VALU_DEP_2) | instskip(SKIP_3) | instid1(VALU_DEP_3)
	v_fmac_f32_e32 v27, v135, v2
	v_mul_f32_e32 v2, v136, v2
	v_cvt_f64_f32_e32 v[17:18], v17
	v_fma_f32 v6, v129, v5, -v6
	v_fma_f32 v2, v135, v3, -v2
	s_delay_alu instid0(VALU_DEP_2)
	v_cvt_f64_f32_e32 v[35:36], v6
	s_wait_dscnt 0x1
	v_mul_f32_e32 v6, v115, v11
	s_wait_dscnt 0x0
	v_mul_f32_e32 v43, v119, v15
	v_cvt_f64_f32_e32 v[31:32], v2
	v_mul_f32_e32 v2, v127, v9
	v_fma_f32 v6, v114, v12, -v6
	s_delay_alu instid0(VALU_DEP_4) | instskip(NEXT) | instid1(VALU_DEP_3)
	v_fma_f32 v43, v118, v16, -v43
	v_fma_f32 v2, v126, v10, -v2
	v_mul_f64_e32 v[17:18], s[2:3], v[17:18]
	v_mul_f64_e32 v[35:36], s[2:3], v[35:36]
	v_mul_f64_e32 v[31:32], s[2:3], v[31:32]
	s_delay_alu instid0(VALU_DEP_3)
	v_cvt_f32_f64_e32 v25, v[17:18]
	ds_load_2addr_b64 v[17:20], v1 offset0:16 offset1:84
	v_mul_f32_e32 v39, v117, v14
	s_wait_dscnt 0x0
	v_dual_mul_f32 v3, v130, v5 :: v_dual_mul_f32 v40, v125, v18
	v_mul_f32_e32 v44, v123, v20
	v_mul_f32_e32 v37, v115, v12
	s_delay_alu instid0(VALU_DEP_3) | instskip(NEXT) | instid1(VALU_DEP_3)
	v_dual_mul_f32 v45, v123, v19 :: v_dual_fmac_f32 v40, v124, v17
	v_fmac_f32_e32 v44, v122, v19
	s_delay_alu instid0(VALU_DEP_3)
	v_fmac_f32_e32 v37, v114, v11
	v_mul_f32_e32 v11, v117, v13
	v_cvt_f64_f32_e32 v[27:28], v27
	v_fma_f32 v45, v122, v20, -v45
	v_cvt_f64_f32_e32 v[19:20], v43
	v_cvt_f64_f32_e32 v[43:44], v44
	v_fma_f32 v42, v116, v14, -v11
	v_cvt_f64_f32_e32 v[11:12], v6
	v_mul_f32_e32 v6, v119, v16
	v_mul_f32_e32 v1, v127, v10
	v_cvt_f64_f32_e32 v[37:38], v37
	v_cvt_f64_f32_e32 v[45:46], v45
	s_delay_alu instid0(VALU_DEP_4) | instskip(NEXT) | instid1(VALU_DEP_4)
	v_fmac_f32_e32 v6, v118, v15
	v_fmac_f32_e32 v1, v126, v9
	v_cvt_f64_f32_e32 v[9:10], v2
	s_delay_alu instid0(VALU_DEP_3) | instskip(SKIP_3) | instid1(VALU_DEP_3)
	v_cvt_f64_f32_e32 v[15:16], v6
	v_mul_f32_e32 v6, v132, v8
	v_fmac_f32_e32 v3, v129, v4
	v_cvt_f64_f32_e32 v[4:5], v1
	v_fmac_f32_e32 v6, v131, v7
	s_delay_alu instid0(VALU_DEP_3)
	v_cvt_f64_f32_e32 v[33:34], v3
	ds_load_2addr_b64 v[0:3], v0 offset0:82 offset1:150
	v_mul_f32_e32 v41, v125, v17
	v_fma_f32 v7, v131, v8, -v49
	s_clause 0x2
	global_store_b64 v[21:22], v[29:30], off
	global_store_b64 v[53:54], v[23:24], off
	;; [unrolled: 1-line block ×3, first 2 shown]
	v_mul_f64_e32 v[27:28], s[2:3], v[27:28]
	v_mul_f64_e32 v[19:20], s[2:3], v[19:20]
	;; [unrolled: 1-line block ×3, first 2 shown]
	s_wait_dscnt 0x0
	v_dual_mul_f32 v50, v134, v3 :: v_dual_fmac_f32 v39, v116, v13
	v_mul_f32_e32 v47, v121, v1
	v_fma_f32 v41, v124, v18, -v41
	v_cvt_f64_f32_e32 v[17:18], v42
	s_delay_alu instid0(VALU_DEP_4)
	v_fmac_f32_e32 v50, v133, v2
	v_cvt_f64_f32_e32 v[13:14], v39
	v_fmac_f32_e32 v47, v120, v0
	v_dual_mul_f32 v0, v121, v0 :: v_dual_mul_f32 v51, v134, v2
	v_cvt_f64_f32_e32 v[39:40], v40
	v_cvt_f64_f32_e32 v[41:42], v41
	s_delay_alu instid0(VALU_DEP_4) | instskip(NEXT) | instid1(VALU_DEP_4)
	v_cvt_f64_f32_e32 v[47:48], v47
	v_fma_f32 v0, v120, v1, -v0
	v_fma_f32 v8, v133, v3, -v51
	v_cvt_f64_f32_e32 v[2:3], v6
	v_cvt_f64_f32_e32 v[6:7], v7
	;; [unrolled: 1-line block ×5, first 2 shown]
	v_mul_f64_e32 v[4:5], s[2:3], v[4:5]
	v_mul_f64_e32 v[8:9], s[2:3], v[9:10]
	;; [unrolled: 1-line block ×6, first 2 shown]
	v_cvt_f32_f64_e32 v27, v[27:28]
	v_cvt_f32_f64_e32 v28, v[31:32]
	v_add_co_u32 v31, s0, v55, s6
	s_wait_alu 0xf1ff
	v_add_co_ci_u32_e64 v32, s0, s7, v56, s0
	v_mul_f64_e32 v[17:18], s[2:3], v[17:18]
	v_mul_f64_e32 v[12:13], s[2:3], v[13:14]
	;; [unrolled: 1-line block ×11, first 2 shown]
	v_cvt_f32_f64_e32 v4, v[4:5]
	v_cvt_f32_f64_e32 v5, v[8:9]
	;; [unrolled: 1-line block ×6, first 2 shown]
	v_add_co_u32 v8, s0, v31, s4
	s_wait_alu 0xf1ff
	v_add_co_ci_u32_e64 v9, s0, s5, v32, s0
	s_delay_alu instid0(VALU_DEP_2) | instskip(SKIP_1) | instid1(VALU_DEP_2)
	v_add_co_u32 v35, s0, v8, s6
	s_wait_alu 0xf1ff
	v_add_co_ci_u32_e64 v36, s0, s7, v9, s0
	global_store_b64 v[31:32], v[27:28], off
	v_cvt_f32_f64_e32 v11, v[17:18]
	v_cvt_f32_f64_e32 v18, v[25:26]
	;; [unrolled: 1-line block ×3, first 2 shown]
	v_add_co_u32 v12, s0, v35, s4
	s_wait_alu 0xf1ff
	v_add_co_ci_u32_e64 v13, s0, s5, v36, s0
	v_cvt_f32_f64_e32 v16, v[21:22]
	v_cvt_f32_f64_e32 v17, v[23:24]
	v_cvt_f32_f64_e32 v14, v[14:15]
	v_cvt_f32_f64_e32 v15, v[19:20]
	v_cvt_f32_f64_e32 v19, v[29:30]
	v_cvt_f32_f64_e32 v20, v[39:40]
	v_cvt_f32_f64_e32 v2, v[2:3]
	v_cvt_f32_f64_e32 v21, v[0:1]
	v_add_co_u32 v0, s0, v12, s6
	v_cvt_f32_f64_e32 v3, v[6:7]
	s_wait_alu 0xf1ff
	v_add_co_ci_u32_e64 v1, s0, s7, v13, s0
	v_cvt_f32_f64_e32 v6, v[41:42]
	v_cvt_f32_f64_e32 v7, v[43:44]
	v_add_co_u32 v22, s0, v0, s4
	s_wait_alu 0xf1ff
	v_add_co_ci_u32_e64 v23, s0, s5, v1, s0
	global_store_b64 v[8:9], v[4:5], off
	v_add_co_u32 v4, s0, v22, s6
	s_wait_alu 0xf1ff
	v_add_co_ci_u32_e64 v5, s0, s7, v23, s0
	global_store_b64 v[35:36], v[33:34], off
	;; [unrolled: 4-line block ×6, first 2 shown]
	global_store_b64 v[8:9], v[18:19], off
	global_store_b64 v[12:13], v[20:21], off
	;; [unrolled: 1-line block ×4, first 2 shown]
	s_and_b32 exec_lo, exec_lo, vcc_lo
	s_cbranch_execz .LBB0_31
; %bb.30:
	global_load_b64 v[2:3], v[112:113], off offset:3808
	ds_load_b64 v[4:5], v165 offset:3808
	ds_load_b64 v[6:7], v165 offset:7888
	v_add_co_u32 v0, vcc_lo, v0, s4
	s_wait_alu 0xfffd
	v_add_co_ci_u32_e32 v1, vcc_lo, s5, v1, vcc_lo
	s_wait_loadcnt_dscnt 0x1
	v_mul_f32_e32 v8, v5, v3
	v_mul_f32_e32 v3, v4, v3
	s_delay_alu instid0(VALU_DEP_2) | instskip(NEXT) | instid1(VALU_DEP_2)
	v_fmac_f32_e32 v8, v4, v2
	v_fma_f32 v4, v2, v5, -v3
	s_delay_alu instid0(VALU_DEP_2) | instskip(NEXT) | instid1(VALU_DEP_2)
	v_cvt_f64_f32_e32 v[2:3], v8
	v_cvt_f64_f32_e32 v[4:5], v4
	s_delay_alu instid0(VALU_DEP_2) | instskip(NEXT) | instid1(VALU_DEP_2)
	v_mul_f64_e32 v[2:3], s[2:3], v[2:3]
	v_mul_f64_e32 v[4:5], s[2:3], v[4:5]
	s_delay_alu instid0(VALU_DEP_2) | instskip(NEXT) | instid1(VALU_DEP_2)
	v_cvt_f32_f64_e32 v2, v[2:3]
	v_cvt_f32_f64_e32 v3, v[4:5]
	global_store_b64 v[0:1], v[2:3], off
	global_load_b64 v[2:3], v[112:113], off offset:7888
	v_add_co_u32 v0, vcc_lo, v0, s6
	s_wait_alu 0xfffd
	v_add_co_ci_u32_e32 v1, vcc_lo, s7, v1, vcc_lo
	s_wait_loadcnt_dscnt 0x0
	v_mul_f32_e32 v4, v7, v3
	v_mul_f32_e32 v3, v6, v3
	s_delay_alu instid0(VALU_DEP_2) | instskip(NEXT) | instid1(VALU_DEP_2)
	v_fmac_f32_e32 v4, v6, v2
	v_fma_f32 v5, v2, v7, -v3
	s_delay_alu instid0(VALU_DEP_2) | instskip(NEXT) | instid1(VALU_DEP_2)
	v_cvt_f64_f32_e32 v[2:3], v4
	v_cvt_f64_f32_e32 v[4:5], v5
	s_delay_alu instid0(VALU_DEP_2) | instskip(NEXT) | instid1(VALU_DEP_2)
	v_mul_f64_e32 v[2:3], s[2:3], v[2:3]
	v_mul_f64_e32 v[4:5], s[2:3], v[4:5]
	s_delay_alu instid0(VALU_DEP_2) | instskip(NEXT) | instid1(VALU_DEP_2)
	v_cvt_f32_f64_e32 v2, v[2:3]
	v_cvt_f32_f64_e32 v3, v[4:5]
	global_store_b64 v[0:1], v[2:3], off
.LBB0_31:
	s_nop 0
	s_sendmsg sendmsg(MSG_DEALLOC_VGPRS)
	s_endpgm
	.section	.rodata,"a",@progbits
	.p2align	6, 0x0
	.amdhsa_kernel bluestein_single_fwd_len1020_dim1_sp_op_CI_CI
		.amdhsa_group_segment_fixed_size 24480
		.amdhsa_private_segment_fixed_size 44
		.amdhsa_kernarg_size 104
		.amdhsa_user_sgpr_count 2
		.amdhsa_user_sgpr_dispatch_ptr 0
		.amdhsa_user_sgpr_queue_ptr 0
		.amdhsa_user_sgpr_kernarg_segment_ptr 1
		.amdhsa_user_sgpr_dispatch_id 0
		.amdhsa_user_sgpr_private_segment_size 0
		.amdhsa_wavefront_size32 1
		.amdhsa_uses_dynamic_stack 0
		.amdhsa_enable_private_segment 1
		.amdhsa_system_sgpr_workgroup_id_x 1
		.amdhsa_system_sgpr_workgroup_id_y 0
		.amdhsa_system_sgpr_workgroup_id_z 0
		.amdhsa_system_sgpr_workgroup_info 0
		.amdhsa_system_vgpr_workitem_id 0
		.amdhsa_next_free_vgpr 256
		.amdhsa_next_free_sgpr 18
		.amdhsa_reserve_vcc 1
		.amdhsa_float_round_mode_32 0
		.amdhsa_float_round_mode_16_64 0
		.amdhsa_float_denorm_mode_32 3
		.amdhsa_float_denorm_mode_16_64 3
		.amdhsa_fp16_overflow 0
		.amdhsa_workgroup_processor_mode 1
		.amdhsa_memory_ordered 1
		.amdhsa_forward_progress 0
		.amdhsa_round_robin_scheduling 0
		.amdhsa_exception_fp_ieee_invalid_op 0
		.amdhsa_exception_fp_denorm_src 0
		.amdhsa_exception_fp_ieee_div_zero 0
		.amdhsa_exception_fp_ieee_overflow 0
		.amdhsa_exception_fp_ieee_underflow 0
		.amdhsa_exception_fp_ieee_inexact 0
		.amdhsa_exception_int_div_zero 0
	.end_amdhsa_kernel
	.text
.Lfunc_end0:
	.size	bluestein_single_fwd_len1020_dim1_sp_op_CI_CI, .Lfunc_end0-bluestein_single_fwd_len1020_dim1_sp_op_CI_CI
                                        ; -- End function
	.section	.AMDGPU.csdata,"",@progbits
; Kernel info:
; codeLenInByte = 24964
; NumSgprs: 20
; NumVgprs: 256
; ScratchSize: 44
; MemoryBound: 0
; FloatMode: 240
; IeeeMode: 1
; LDSByteSize: 24480 bytes/workgroup (compile time only)
; SGPRBlocks: 2
; VGPRBlocks: 31
; NumSGPRsForWavesPerEU: 20
; NumVGPRsForWavesPerEU: 256
; Occupancy: 5
; WaveLimiterHint : 1
; COMPUTE_PGM_RSRC2:SCRATCH_EN: 1
; COMPUTE_PGM_RSRC2:USER_SGPR: 2
; COMPUTE_PGM_RSRC2:TRAP_HANDLER: 0
; COMPUTE_PGM_RSRC2:TGID_X_EN: 1
; COMPUTE_PGM_RSRC2:TGID_Y_EN: 0
; COMPUTE_PGM_RSRC2:TGID_Z_EN: 0
; COMPUTE_PGM_RSRC2:TIDIG_COMP_CNT: 0
	.text
	.p2alignl 7, 3214868480
	.fill 96, 4, 3214868480
	.type	__hip_cuid_bb3c4dbccee97f68,@object ; @__hip_cuid_bb3c4dbccee97f68
	.section	.bss,"aw",@nobits
	.globl	__hip_cuid_bb3c4dbccee97f68
__hip_cuid_bb3c4dbccee97f68:
	.byte	0                               ; 0x0
	.size	__hip_cuid_bb3c4dbccee97f68, 1

	.ident	"AMD clang version 19.0.0git (https://github.com/RadeonOpenCompute/llvm-project roc-6.4.0 25133 c7fe45cf4b819c5991fe208aaa96edf142730f1d)"
	.section	".note.GNU-stack","",@progbits
	.addrsig
	.addrsig_sym __hip_cuid_bb3c4dbccee97f68
	.amdgpu_metadata
---
amdhsa.kernels:
  - .args:
      - .actual_access:  read_only
        .address_space:  global
        .offset:         0
        .size:           8
        .value_kind:     global_buffer
      - .actual_access:  read_only
        .address_space:  global
        .offset:         8
        .size:           8
        .value_kind:     global_buffer
      - .actual_access:  read_only
        .address_space:  global
        .offset:         16
        .size:           8
        .value_kind:     global_buffer
      - .actual_access:  read_only
        .address_space:  global
        .offset:         24
        .size:           8
        .value_kind:     global_buffer
      - .actual_access:  read_only
        .address_space:  global
        .offset:         32
        .size:           8
        .value_kind:     global_buffer
      - .offset:         40
        .size:           8
        .value_kind:     by_value
      - .address_space:  global
        .offset:         48
        .size:           8
        .value_kind:     global_buffer
      - .address_space:  global
        .offset:         56
        .size:           8
        .value_kind:     global_buffer
      - .address_space:  global
        .offset:         64
        .size:           8
        .value_kind:     global_buffer
      - .address_space:  global
        .offset:         72
        .size:           8
        .value_kind:     global_buffer
      - .offset:         80
        .size:           4
        .value_kind:     by_value
      - .address_space:  global
        .offset:         88
        .size:           8
        .value_kind:     global_buffer
      - .address_space:  global
        .offset:         96
        .size:           8
        .value_kind:     global_buffer
    .group_segment_fixed_size: 24480
    .kernarg_segment_align: 8
    .kernarg_segment_size: 104
    .language:       OpenCL C
    .language_version:
      - 2
      - 0
    .max_flat_workgroup_size: 204
    .name:           bluestein_single_fwd_len1020_dim1_sp_op_CI_CI
    .private_segment_fixed_size: 44
    .sgpr_count:     20
    .sgpr_spill_count: 0
    .symbol:         bluestein_single_fwd_len1020_dim1_sp_op_CI_CI.kd
    .uniform_work_group_size: 1
    .uses_dynamic_stack: false
    .vgpr_count:     256
    .vgpr_spill_count: 10
    .wavefront_size: 32
    .workgroup_processor_mode: 1
amdhsa.target:   amdgcn-amd-amdhsa--gfx1201
amdhsa.version:
  - 1
  - 2
...

	.end_amdgpu_metadata
